;; amdgpu-corpus repo=ROCm/rocSPARSE kind=compiled arch=gfx1250 opt=O3
	.amdgcn_target "amdgcn-amd-amdhsa--gfx1250"
	.amdhsa_code_object_version 6
	.section	.text._ZN9rocsparseL30csr2ell_strided_batched_kernelILj512EiiiEEvT2_PKT0_lPKT1_PKS1_21rocsparse_index_base_S1_PS1_PS2_lSA_,"axG",@progbits,_ZN9rocsparseL30csr2ell_strided_batched_kernelILj512EiiiEEvT2_PKT0_lPKT1_PKS1_21rocsparse_index_base_S1_PS1_PS2_lSA_,comdat
	.globl	_ZN9rocsparseL30csr2ell_strided_batched_kernelILj512EiiiEEvT2_PKT0_lPKT1_PKS1_21rocsparse_index_base_S1_PS1_PS2_lSA_ ; -- Begin function _ZN9rocsparseL30csr2ell_strided_batched_kernelILj512EiiiEEvT2_PKT0_lPKT1_PKS1_21rocsparse_index_base_S1_PS1_PS2_lSA_
	.p2align	8
	.type	_ZN9rocsparseL30csr2ell_strided_batched_kernelILj512EiiiEEvT2_PKT0_lPKT1_PKS1_21rocsparse_index_base_S1_PS1_PS2_lSA_,@function
_ZN9rocsparseL30csr2ell_strided_batched_kernelILj512EiiiEEvT2_PKT0_lPKT1_PKS1_21rocsparse_index_base_S1_PS1_PS2_lSA_: ; @_ZN9rocsparseL30csr2ell_strided_batched_kernelILj512EiiiEEvT2_PKT0_lPKT1_PKS1_21rocsparse_index_base_S1_PS1_PS2_lSA_
; %bb.0:
	s_load_b32 s18, s[0:1], 0x0
	s_bfe_u32 s2, ttmp6, 0x4000c
	s_and_b32 s3, ttmp6, 15
	s_add_co_i32 s2, s2, 1
	s_getreg_b32 s16, hwreg(HW_REG_IB_STS2, 6, 4)
	s_mul_i32 s2, ttmp9, s2
	s_mov_b32 s17, 0
	s_add_co_i32 s3, s3, s2
	s_cmp_eq_u32 s16, 0
	s_cselect_b32 s2, ttmp9, s3
	s_delay_alu instid0(SALU_CYCLE_1) | instskip(SKIP_3) | instid1(VALU_DEP_1)
	s_lshl_b32 s19, s2, 9
	s_mov_b32 s2, exec_lo
	v_or_b32_e32 v2, s19, v0
	s_wait_kmcnt 0x0
	v_cmpx_gt_i32_e64 s18, v2
	s_cbranch_execz .LBB0_7
; %bb.1:
	s_load_b256 s[4:11], s[0:1], 0x8
	v_ashrrev_i32_e32 v3, 31, v2
	s_bfe_u32 s20, ttmp6, 0x40010
	s_bfe_u32 s21, ttmp6, 0x40004
	s_add_co_i32 s20, s20, 1
	s_delay_alu instid0(SALU_CYCLE_1) | instskip(NEXT) | instid1(SALU_CYCLE_1)
	s_mul_i32 s20, ttmp7, s20
	s_add_co_i32 s21, s21, s20
	s_cmp_eq_u32 s16, 0
	s_cselect_b32 s16, ttmp7, s21
	s_wait_kmcnt 0x0
	v_lshl_add_u64 v[4:5], v[2:3], 2, s[8:9]
	global_load_b64 v[6:7], v[4:5], off
	s_clause 0x2
	s_load_b64 s[8:9], s[0:1], 0x40
	s_load_b64 s[2:3], s[0:1], 0x28
	s_load_b128 s[12:15], s[0:1], 0x30
	s_wait_kmcnt 0x0
	s_mul_u64 s[8:9], s[8:9], s[16:17]
	s_delay_alu instid0(SALU_CYCLE_1)
	s_lshl_b64 s[8:9], s[8:9], 2
	s_cmp_gt_i32 s3, 0
	s_add_nc_u64 s[8:9], s[14:15], s[8:9]
	s_cselect_b32 s20, -1, 0
	s_wait_loadcnt 0x0
	v_cmp_lt_i32_e32 vcc_lo, v6, v7
	v_subrev_nc_u32_e32 v4, s2, v6
	v_subrev_nc_u32_e32 v1, s2, v7
	s_and_b32 s15, s20, vcc_lo
	s_delay_alu instid0(SALU_CYCLE_1)
	s_and_saveexec_b32 s14, s15
	s_cbranch_execz .LBB0_4
; %bb.2:
	s_load_b32 s15, s[0:1], 0x48
	v_ashrrev_i32_e32 v5, 31, v4
	s_wait_xcnt 0x0
	s_mul_u64 s[0:1], s[6:7], s[16:17]
	s_delay_alu instid0(SALU_CYCLE_1) | instskip(NEXT) | instid1(VALU_DEP_1)
	s_lshl_b64 s[0:1], s[0:1], 2
	v_lshlrev_b64_e32 v[8:9], 2, v[4:5]
	s_add_nc_u64 s[0:1], s[4:5], s[0:1]
	s_delay_alu instid0(VALU_DEP_1)
	v_add_nc_u64_e32 v[6:7], s[10:11], v[8:9]
	v_add_nc_u64_e32 v[8:9], s[0:1], v[8:9]
	s_mov_b32 s0, 1
	s_wait_kmcnt 0x0
	s_sub_co_i32 s1, s15, s2
	s_mov_b32 s2, 0
.LBB0_3:                                ; =>This Inner Loop Header: Depth=1
	global_load_b32 v3, v[6:7], off
	s_cmp_ge_i32 s0, s3
	s_wait_xcnt 0x0
	v_add_nc_u64_e32 v[6:7], 4, v[6:7]
	s_cselect_b32 s4, -1, 0
	v_add_nc_u32_e32 v5, s0, v4
	s_add_co_i32 s0, s0, 1
	s_delay_alu instid0(VALU_DEP_1) | instskip(SKIP_1) | instid1(SALU_CYCLE_1)
	v_cmp_ge_i32_e32 vcc_lo, v5, v1
	s_or_b32 s4, vcc_lo, s4
	s_and_b32 s4, exec_lo, s4
	s_delay_alu instid0(SALU_CYCLE_1)
	s_or_b32 s2, s4, s2
	s_wait_loadcnt 0x0
	v_add_nc_u32_e32 v3, s1, v3
	global_store_b32 v2, v3, s[12:13] scale_offset
	global_load_b32 v3, v[8:9], off
	s_wait_xcnt 0x0
	v_add_nc_u64_e32 v[8:9], 4, v[8:9]
	s_wait_loadcnt 0x0
	global_store_b32 v2, v3, s[8:9] scale_offset
	s_wait_xcnt 0x0
	v_add_nc_u32_e32 v2, s18, v2
	s_and_not1_b32 exec_lo, exec_lo, s2
	s_cbranch_execnz .LBB0_3
.LBB0_4:
	s_or_b32 exec_lo, exec_lo, s14
	v_sub_nc_u32_e32 v1, v1, v4
	s_delay_alu instid0(VALU_DEP_1)
	v_cmp_gt_i32_e32 vcc_lo, s3, v1
	s_and_b32 exec_lo, exec_lo, vcc_lo
	s_cbranch_execz .LBB0_7
; %bb.5:
	v_mul_lo_u32 v3, s18, v1
	v_mov_b32_e32 v2, -1
	s_mov_b32 s0, 0
	s_delay_alu instid0(VALU_DEP_2)
	v_add3_u32 v0, v0, v3, s19
	v_mov_b32_e32 v3, 0
.LBB0_6:                                ; =>This Inner Loop Header: Depth=1
	v_add_nc_u32_e32 v1, 1, v1
	s_clause 0x1
	global_store_b32 v0, v2, s[12:13] scale_offset
	global_store_b32 v0, v3, s[8:9] scale_offset
	s_wait_xcnt 0x0
	v_add_nc_u32_e32 v0, s18, v0
	v_cmp_le_i32_e32 vcc_lo, s3, v1
	s_or_b32 s0, vcc_lo, s0
	s_delay_alu instid0(SALU_CYCLE_1)
	s_and_not1_b32 exec_lo, exec_lo, s0
	s_cbranch_execnz .LBB0_6
.LBB0_7:
	s_endpgm
	.section	.rodata,"a",@progbits
	.p2align	6, 0x0
	.amdhsa_kernel _ZN9rocsparseL30csr2ell_strided_batched_kernelILj512EiiiEEvT2_PKT0_lPKT1_PKS1_21rocsparse_index_base_S1_PS1_PS2_lSA_
		.amdhsa_group_segment_fixed_size 0
		.amdhsa_private_segment_fixed_size 0
		.amdhsa_kernarg_size 76
		.amdhsa_user_sgpr_count 2
		.amdhsa_user_sgpr_dispatch_ptr 0
		.amdhsa_user_sgpr_queue_ptr 0
		.amdhsa_user_sgpr_kernarg_segment_ptr 1
		.amdhsa_user_sgpr_dispatch_id 0
		.amdhsa_user_sgpr_kernarg_preload_length 0
		.amdhsa_user_sgpr_kernarg_preload_offset 0
		.amdhsa_user_sgpr_private_segment_size 0
		.amdhsa_wavefront_size32 1
		.amdhsa_uses_dynamic_stack 0
		.amdhsa_enable_private_segment 0
		.amdhsa_system_sgpr_workgroup_id_x 1
		.amdhsa_system_sgpr_workgroup_id_y 1
		.amdhsa_system_sgpr_workgroup_id_z 0
		.amdhsa_system_sgpr_workgroup_info 0
		.amdhsa_system_vgpr_workitem_id 0
		.amdhsa_next_free_vgpr 10
		.amdhsa_next_free_sgpr 22
		.amdhsa_named_barrier_count 0
		.amdhsa_reserve_vcc 1
		.amdhsa_float_round_mode_32 0
		.amdhsa_float_round_mode_16_64 0
		.amdhsa_float_denorm_mode_32 3
		.amdhsa_float_denorm_mode_16_64 3
		.amdhsa_fp16_overflow 0
		.amdhsa_memory_ordered 1
		.amdhsa_forward_progress 1
		.amdhsa_inst_pref_size 5
		.amdhsa_round_robin_scheduling 0
		.amdhsa_exception_fp_ieee_invalid_op 0
		.amdhsa_exception_fp_denorm_src 0
		.amdhsa_exception_fp_ieee_div_zero 0
		.amdhsa_exception_fp_ieee_overflow 0
		.amdhsa_exception_fp_ieee_underflow 0
		.amdhsa_exception_fp_ieee_inexact 0
		.amdhsa_exception_int_div_zero 0
	.end_amdhsa_kernel
	.section	.text._ZN9rocsparseL30csr2ell_strided_batched_kernelILj512EiiiEEvT2_PKT0_lPKT1_PKS1_21rocsparse_index_base_S1_PS1_PS2_lSA_,"axG",@progbits,_ZN9rocsparseL30csr2ell_strided_batched_kernelILj512EiiiEEvT2_PKT0_lPKT1_PKS1_21rocsparse_index_base_S1_PS1_PS2_lSA_,comdat
.Lfunc_end0:
	.size	_ZN9rocsparseL30csr2ell_strided_batched_kernelILj512EiiiEEvT2_PKT0_lPKT1_PKS1_21rocsparse_index_base_S1_PS1_PS2_lSA_, .Lfunc_end0-_ZN9rocsparseL30csr2ell_strided_batched_kernelILj512EiiiEEvT2_PKT0_lPKT1_PKS1_21rocsparse_index_base_S1_PS1_PS2_lSA_
                                        ; -- End function
	.set _ZN9rocsparseL30csr2ell_strided_batched_kernelILj512EiiiEEvT2_PKT0_lPKT1_PKS1_21rocsparse_index_base_S1_PS1_PS2_lSA_.num_vgpr, 10
	.set _ZN9rocsparseL30csr2ell_strided_batched_kernelILj512EiiiEEvT2_PKT0_lPKT1_PKS1_21rocsparse_index_base_S1_PS1_PS2_lSA_.num_agpr, 0
	.set _ZN9rocsparseL30csr2ell_strided_batched_kernelILj512EiiiEEvT2_PKT0_lPKT1_PKS1_21rocsparse_index_base_S1_PS1_PS2_lSA_.numbered_sgpr, 22
	.set _ZN9rocsparseL30csr2ell_strided_batched_kernelILj512EiiiEEvT2_PKT0_lPKT1_PKS1_21rocsparse_index_base_S1_PS1_PS2_lSA_.num_named_barrier, 0
	.set _ZN9rocsparseL30csr2ell_strided_batched_kernelILj512EiiiEEvT2_PKT0_lPKT1_PKS1_21rocsparse_index_base_S1_PS1_PS2_lSA_.private_seg_size, 0
	.set _ZN9rocsparseL30csr2ell_strided_batched_kernelILj512EiiiEEvT2_PKT0_lPKT1_PKS1_21rocsparse_index_base_S1_PS1_PS2_lSA_.uses_vcc, 1
	.set _ZN9rocsparseL30csr2ell_strided_batched_kernelILj512EiiiEEvT2_PKT0_lPKT1_PKS1_21rocsparse_index_base_S1_PS1_PS2_lSA_.uses_flat_scratch, 0
	.set _ZN9rocsparseL30csr2ell_strided_batched_kernelILj512EiiiEEvT2_PKT0_lPKT1_PKS1_21rocsparse_index_base_S1_PS1_PS2_lSA_.has_dyn_sized_stack, 0
	.set _ZN9rocsparseL30csr2ell_strided_batched_kernelILj512EiiiEEvT2_PKT0_lPKT1_PKS1_21rocsparse_index_base_S1_PS1_PS2_lSA_.has_recursion, 0
	.set _ZN9rocsparseL30csr2ell_strided_batched_kernelILj512EiiiEEvT2_PKT0_lPKT1_PKS1_21rocsparse_index_base_S1_PS1_PS2_lSA_.has_indirect_call, 0
	.section	.AMDGPU.csdata,"",@progbits
; Kernel info:
; codeLenInByte = 560
; TotalNumSgprs: 24
; NumVgprs: 10
; ScratchSize: 0
; MemoryBound: 0
; FloatMode: 240
; IeeeMode: 1
; LDSByteSize: 0 bytes/workgroup (compile time only)
; SGPRBlocks: 0
; VGPRBlocks: 0
; NumSGPRsForWavesPerEU: 24
; NumVGPRsForWavesPerEU: 10
; NamedBarCnt: 0
; Occupancy: 16
; WaveLimiterHint : 0
; COMPUTE_PGM_RSRC2:SCRATCH_EN: 0
; COMPUTE_PGM_RSRC2:USER_SGPR: 2
; COMPUTE_PGM_RSRC2:TRAP_HANDLER: 0
; COMPUTE_PGM_RSRC2:TGID_X_EN: 1
; COMPUTE_PGM_RSRC2:TGID_Y_EN: 1
; COMPUTE_PGM_RSRC2:TGID_Z_EN: 0
; COMPUTE_PGM_RSRC2:TIDIG_COMP_CNT: 0
	.section	.text._ZN9rocsparseL30csr2ell_strided_batched_kernelILj512EiliEEvT2_PKT0_lPKT1_PKS1_21rocsparse_index_base_S1_PS1_PS2_lSA_,"axG",@progbits,_ZN9rocsparseL30csr2ell_strided_batched_kernelILj512EiliEEvT2_PKT0_lPKT1_PKS1_21rocsparse_index_base_S1_PS1_PS2_lSA_,comdat
	.globl	_ZN9rocsparseL30csr2ell_strided_batched_kernelILj512EiliEEvT2_PKT0_lPKT1_PKS1_21rocsparse_index_base_S1_PS1_PS2_lSA_ ; -- Begin function _ZN9rocsparseL30csr2ell_strided_batched_kernelILj512EiliEEvT2_PKT0_lPKT1_PKS1_21rocsparse_index_base_S1_PS1_PS2_lSA_
	.p2align	8
	.type	_ZN9rocsparseL30csr2ell_strided_batched_kernelILj512EiliEEvT2_PKT0_lPKT1_PKS1_21rocsparse_index_base_S1_PS1_PS2_lSA_,@function
_ZN9rocsparseL30csr2ell_strided_batched_kernelILj512EiliEEvT2_PKT0_lPKT1_PKS1_21rocsparse_index_base_S1_PS1_PS2_lSA_: ; @_ZN9rocsparseL30csr2ell_strided_batched_kernelILj512EiliEEvT2_PKT0_lPKT1_PKS1_21rocsparse_index_base_S1_PS1_PS2_lSA_
; %bb.0:
	s_load_b32 s18, s[0:1], 0x0
	s_bfe_u32 s2, ttmp6, 0x4000c
	s_and_b32 s3, ttmp6, 15
	s_add_co_i32 s2, s2, 1
	s_getreg_b32 s16, hwreg(HW_REG_IB_STS2, 6, 4)
	s_mul_i32 s2, ttmp9, s2
	s_mov_b32 s17, 0
	s_add_co_i32 s3, s3, s2
	s_cmp_eq_u32 s16, 0
	s_cselect_b32 s2, ttmp9, s3
	s_delay_alu instid0(SALU_CYCLE_1) | instskip(SKIP_3) | instid1(VALU_DEP_1)
	s_lshl_b32 s19, s2, 9
	s_mov_b32 s2, exec_lo
	v_or_b32_e32 v6, s19, v0
	s_wait_kmcnt 0x0
	v_cmpx_gt_i32_e64 s18, v6
	s_cbranch_execz .LBB1_7
; %bb.1:
	s_load_b256 s[4:11], s[0:1], 0x8
	v_ashrrev_i32_e32 v7, 31, v6
	s_mov_b32 s21, s17
	s_bfe_u32 s22, ttmp6, 0x40010
	s_bfe_u32 s23, ttmp6, 0x40004
	s_add_co_i32 s22, s22, 1
	s_delay_alu instid0(SALU_CYCLE_1) | instskip(NEXT) | instid1(SALU_CYCLE_1)
	s_mul_i32 s22, ttmp7, s22
	s_add_co_i32 s23, s23, s22
	s_cmp_eq_u32 s16, 0
	s_cselect_b32 s16, ttmp7, s23
	s_wait_kmcnt 0x0
	v_lshl_add_u64 v[2:3], v[6:7], 3, s[8:9]
	global_load_b128 v[2:5], v[2:3], off
	s_clause 0x2
	s_load_b64 s[2:3], s[0:1], 0x28
	s_load_b64 s[8:9], s[0:1], 0x40
	s_load_b128 s[12:15], s[0:1], 0x30
	s_wait_kmcnt 0x0
	s_mov_b32 s20, s2
	s_mul_u64 s[8:9], s[8:9], s[16:17]
	s_delay_alu instid0(SALU_CYCLE_1)
	s_lshl_b64 s[8:9], s[8:9], 2
	s_cmp_gt_i32 s3, 0
	s_add_nc_u64 s[8:9], s[14:15], s[8:9]
	s_wait_loadcnt 0x0
	v_sub_nc_u64_e64 v[8:9], v[2:3], s[20:21]
	v_sub_nc_u64_e64 v[4:5], v[4:5], s[20:21]
	s_cselect_b32 s20, -1, 0
	s_delay_alu instid0(VALU_DEP_2) | instskip(NEXT) | instid1(VALU_DEP_1)
	v_ashrrev_i32_e32 v9, 31, v8
	v_cmp_gt_i64_e32 vcc_lo, v[4:5], v[8:9]
	s_and_b32 s15, s20, vcc_lo
	s_delay_alu instid0(SALU_CYCLE_1)
	s_and_saveexec_b32 s14, s15
	s_cbranch_execz .LBB1_4
; %bb.2:
	s_load_b32 s15, s[0:1], 0x48
	v_subrev_nc_u32_e32 v1, s2, v2
	v_mov_b64_e32 v[10:11], v[8:9]
	s_wait_xcnt 0x0
	s_mul_u64 s[0:1], s[6:7], s[16:17]
	s_mov_b64 s[6:7], 0
	s_lshl_b64 s[0:1], s[0:1], 2
	v_dual_mov_b32 v1, v8 :: v_dual_add_nc_u32 v2, 1, v1
	s_add_nc_u64 s[0:1], s[4:5], s[0:1]
	s_mov_b32 s4, 0
	s_delay_alu instid0(VALU_DEP_1)
	v_ashrrev_i32_e32 v3, 31, v2
	s_wait_kmcnt 0x0
	s_sub_co_i32 s2, s15, s2
.LBB1_3:                                ; =>This Inner Loop Header: Depth=1
	v_lshlrev_b64_e32 v[10:11], 2, v[10:11]
	s_delay_alu instid0(VALU_DEP_1)
	v_add_nc_u64_e32 v[12:13], s[10:11], v[10:11]
	v_add_nc_u64_e32 v[10:11], s[0:1], v[10:11]
	global_load_b32 v7, v[12:13], off
	s_wait_xcnt 0x0
	v_add_nc_u64_e32 v[12:13], s[6:7], v[2:3]
	s_add_nc_u64 s[6:7], s[6:7], 1
	s_delay_alu instid0(SALU_CYCLE_1) | instskip(SKIP_1) | instid1(VALU_DEP_1)
	s_cmp_ge_i32 s6, s3
	s_cselect_b32 s5, -1, 0
	v_cmp_le_i64_e32 vcc_lo, v[4:5], v[12:13]
	s_or_b32 s5, vcc_lo, s5
	s_delay_alu instid0(SALU_CYCLE_1) | instskip(NEXT) | instid1(SALU_CYCLE_1)
	s_and_b32 s5, exec_lo, s5
	s_or_b32 s4, s5, s4
	s_wait_loadcnt 0x0
	v_add_nc_u32_e32 v7, s2, v7
	global_store_b32 v6, v7, s[12:13] scale_offset
	global_load_b32 v7, v[10:11], off
	s_wait_xcnt 0x0
	v_add_nc_u32_e32 v10, 1, v1
	s_delay_alu instid0(VALU_DEP_1)
	v_dual_ashrrev_i32 v11, 31, v10 :: v_dual_mov_b32 v1, v10
	s_wait_loadcnt 0x0
	global_store_b32 v6, v7, s[8:9] scale_offset
	s_wait_xcnt 0x0
	v_add_nc_u32_e32 v6, s18, v6
	s_and_not1_b32 exec_lo, exec_lo, s4
	s_cbranch_execnz .LBB1_3
.LBB1_4:
	s_or_b32 exec_lo, exec_lo, s14
	v_sub_nc_u32_e32 v1, v4, v8
	s_delay_alu instid0(VALU_DEP_1)
	v_cmp_gt_i32_e32 vcc_lo, s3, v1
	s_and_b32 exec_lo, exec_lo, vcc_lo
	s_cbranch_execz .LBB1_7
; %bb.5:
	v_mul_lo_u32 v3, s18, v1
	v_mov_b32_e32 v2, -1
	s_mov_b32 s0, 0
	s_delay_alu instid0(VALU_DEP_2)
	v_add3_u32 v0, v0, v3, s19
	v_mov_b32_e32 v3, 0
.LBB1_6:                                ; =>This Inner Loop Header: Depth=1
	v_add_nc_u32_e32 v1, 1, v1
	s_clause 0x1
	global_store_b32 v0, v2, s[12:13] scale_offset
	global_store_b32 v0, v3, s[8:9] scale_offset
	s_wait_xcnt 0x0
	v_add_nc_u32_e32 v0, s18, v0
	v_cmp_le_i32_e32 vcc_lo, s3, v1
	s_or_b32 s0, vcc_lo, s0
	s_delay_alu instid0(SALU_CYCLE_1)
	s_and_not1_b32 exec_lo, exec_lo, s0
	s_cbranch_execnz .LBB1_6
.LBB1_7:
	s_endpgm
	.section	.rodata,"a",@progbits
	.p2align	6, 0x0
	.amdhsa_kernel _ZN9rocsparseL30csr2ell_strided_batched_kernelILj512EiliEEvT2_PKT0_lPKT1_PKS1_21rocsparse_index_base_S1_PS1_PS2_lSA_
		.amdhsa_group_segment_fixed_size 0
		.amdhsa_private_segment_fixed_size 0
		.amdhsa_kernarg_size 76
		.amdhsa_user_sgpr_count 2
		.amdhsa_user_sgpr_dispatch_ptr 0
		.amdhsa_user_sgpr_queue_ptr 0
		.amdhsa_user_sgpr_kernarg_segment_ptr 1
		.amdhsa_user_sgpr_dispatch_id 0
		.amdhsa_user_sgpr_kernarg_preload_length 0
		.amdhsa_user_sgpr_kernarg_preload_offset 0
		.amdhsa_user_sgpr_private_segment_size 0
		.amdhsa_wavefront_size32 1
		.amdhsa_uses_dynamic_stack 0
		.amdhsa_enable_private_segment 0
		.amdhsa_system_sgpr_workgroup_id_x 1
		.amdhsa_system_sgpr_workgroup_id_y 1
		.amdhsa_system_sgpr_workgroup_id_z 0
		.amdhsa_system_sgpr_workgroup_info 0
		.amdhsa_system_vgpr_workitem_id 0
		.amdhsa_next_free_vgpr 14
		.amdhsa_next_free_sgpr 24
		.amdhsa_named_barrier_count 0
		.amdhsa_reserve_vcc 1
		.amdhsa_float_round_mode_32 0
		.amdhsa_float_round_mode_16_64 0
		.amdhsa_float_denorm_mode_32 3
		.amdhsa_float_denorm_mode_16_64 3
		.amdhsa_fp16_overflow 0
		.amdhsa_memory_ordered 1
		.amdhsa_forward_progress 1
		.amdhsa_inst_pref_size 5
		.amdhsa_round_robin_scheduling 0
		.amdhsa_exception_fp_ieee_invalid_op 0
		.amdhsa_exception_fp_denorm_src 0
		.amdhsa_exception_fp_ieee_div_zero 0
		.amdhsa_exception_fp_ieee_overflow 0
		.amdhsa_exception_fp_ieee_underflow 0
		.amdhsa_exception_fp_ieee_inexact 0
		.amdhsa_exception_int_div_zero 0
	.end_amdhsa_kernel
	.section	.text._ZN9rocsparseL30csr2ell_strided_batched_kernelILj512EiliEEvT2_PKT0_lPKT1_PKS1_21rocsparse_index_base_S1_PS1_PS2_lSA_,"axG",@progbits,_ZN9rocsparseL30csr2ell_strided_batched_kernelILj512EiliEEvT2_PKT0_lPKT1_PKS1_21rocsparse_index_base_S1_PS1_PS2_lSA_,comdat
.Lfunc_end1:
	.size	_ZN9rocsparseL30csr2ell_strided_batched_kernelILj512EiliEEvT2_PKT0_lPKT1_PKS1_21rocsparse_index_base_S1_PS1_PS2_lSA_, .Lfunc_end1-_ZN9rocsparseL30csr2ell_strided_batched_kernelILj512EiliEEvT2_PKT0_lPKT1_PKS1_21rocsparse_index_base_S1_PS1_PS2_lSA_
                                        ; -- End function
	.set _ZN9rocsparseL30csr2ell_strided_batched_kernelILj512EiliEEvT2_PKT0_lPKT1_PKS1_21rocsparse_index_base_S1_PS1_PS2_lSA_.num_vgpr, 14
	.set _ZN9rocsparseL30csr2ell_strided_batched_kernelILj512EiliEEvT2_PKT0_lPKT1_PKS1_21rocsparse_index_base_S1_PS1_PS2_lSA_.num_agpr, 0
	.set _ZN9rocsparseL30csr2ell_strided_batched_kernelILj512EiliEEvT2_PKT0_lPKT1_PKS1_21rocsparse_index_base_S1_PS1_PS2_lSA_.numbered_sgpr, 24
	.set _ZN9rocsparseL30csr2ell_strided_batched_kernelILj512EiliEEvT2_PKT0_lPKT1_PKS1_21rocsparse_index_base_S1_PS1_PS2_lSA_.num_named_barrier, 0
	.set _ZN9rocsparseL30csr2ell_strided_batched_kernelILj512EiliEEvT2_PKT0_lPKT1_PKS1_21rocsparse_index_base_S1_PS1_PS2_lSA_.private_seg_size, 0
	.set _ZN9rocsparseL30csr2ell_strided_batched_kernelILj512EiliEEvT2_PKT0_lPKT1_PKS1_21rocsparse_index_base_S1_PS1_PS2_lSA_.uses_vcc, 1
	.set _ZN9rocsparseL30csr2ell_strided_batched_kernelILj512EiliEEvT2_PKT0_lPKT1_PKS1_21rocsparse_index_base_S1_PS1_PS2_lSA_.uses_flat_scratch, 0
	.set _ZN9rocsparseL30csr2ell_strided_batched_kernelILj512EiliEEvT2_PKT0_lPKT1_PKS1_21rocsparse_index_base_S1_PS1_PS2_lSA_.has_dyn_sized_stack, 0
	.set _ZN9rocsparseL30csr2ell_strided_batched_kernelILj512EiliEEvT2_PKT0_lPKT1_PKS1_21rocsparse_index_base_S1_PS1_PS2_lSA_.has_recursion, 0
	.set _ZN9rocsparseL30csr2ell_strided_batched_kernelILj512EiliEEvT2_PKT0_lPKT1_PKS1_21rocsparse_index_base_S1_PS1_PS2_lSA_.has_indirect_call, 0
	.section	.AMDGPU.csdata,"",@progbits
; Kernel info:
; codeLenInByte = 612
; TotalNumSgprs: 26
; NumVgprs: 14
; ScratchSize: 0
; MemoryBound: 0
; FloatMode: 240
; IeeeMode: 1
; LDSByteSize: 0 bytes/workgroup (compile time only)
; SGPRBlocks: 0
; VGPRBlocks: 0
; NumSGPRsForWavesPerEU: 26
; NumVGPRsForWavesPerEU: 14
; NamedBarCnt: 0
; Occupancy: 16
; WaveLimiterHint : 0
; COMPUTE_PGM_RSRC2:SCRATCH_EN: 0
; COMPUTE_PGM_RSRC2:USER_SGPR: 2
; COMPUTE_PGM_RSRC2:TRAP_HANDLER: 0
; COMPUTE_PGM_RSRC2:TGID_X_EN: 1
; COMPUTE_PGM_RSRC2:TGID_Y_EN: 1
; COMPUTE_PGM_RSRC2:TGID_Z_EN: 0
; COMPUTE_PGM_RSRC2:TIDIG_COMP_CNT: 0
	.section	.text._ZN9rocsparseL30csr2ell_strided_batched_kernelILj512EiilEEvT2_PKT0_lPKT1_PKS1_21rocsparse_index_base_S1_PS1_PS2_lSA_,"axG",@progbits,_ZN9rocsparseL30csr2ell_strided_batched_kernelILj512EiilEEvT2_PKT0_lPKT1_PKS1_21rocsparse_index_base_S1_PS1_PS2_lSA_,comdat
	.globl	_ZN9rocsparseL30csr2ell_strided_batched_kernelILj512EiilEEvT2_PKT0_lPKT1_PKS1_21rocsparse_index_base_S1_PS1_PS2_lSA_ ; -- Begin function _ZN9rocsparseL30csr2ell_strided_batched_kernelILj512EiilEEvT2_PKT0_lPKT1_PKS1_21rocsparse_index_base_S1_PS1_PS2_lSA_
	.p2align	8
	.type	_ZN9rocsparseL30csr2ell_strided_batched_kernelILj512EiilEEvT2_PKT0_lPKT1_PKS1_21rocsparse_index_base_S1_PS1_PS2_lSA_,@function
_ZN9rocsparseL30csr2ell_strided_batched_kernelILj512EiilEEvT2_PKT0_lPKT1_PKS1_21rocsparse_index_base_S1_PS1_PS2_lSA_: ; @_ZN9rocsparseL30csr2ell_strided_batched_kernelILj512EiilEEvT2_PKT0_lPKT1_PKS1_21rocsparse_index_base_S1_PS1_PS2_lSA_
; %bb.0:
	s_load_b256 s[4:11], s[0:1], 0x0
	s_bfe_u32 s2, ttmp6, 0x4000c
	s_and_b32 s3, ttmp6, 15
	s_add_co_i32 s2, s2, 1
	s_mov_b32 s25, 0
	s_mul_i32 s12, ttmp9, s2
	s_getreg_b32 s2, hwreg(HW_REG_IB_STS2, 6, 4)
	s_add_co_i32 s3, s3, s12
	s_cmp_eq_u32 s2, 0
	v_mov_b32_e32 v3, 0
	s_cselect_b32 s3, ttmp9, s3
	s_delay_alu instid0(SALU_CYCLE_1) | instskip(SKIP_3) | instid1(VALU_DEP_1)
	s_lshl_b32 s23, s3, 9
	s_mov_b32 s3, exec_lo
	v_or_b32_e32 v2, s23, v0
	s_wait_kmcnt 0x0
	v_cmpx_gt_i64_e64 s[4:5], v[2:3]
	s_cbranch_execz .LBB2_7
; %bb.1:
	v_lshl_add_u64 v[4:5], v[2:3], 2, s[10:11]
	s_bfe_u32 s3, ttmp6, 0x40010
	s_bfe_u32 s5, ttmp6, 0x40004
	s_add_co_i32 s3, s3, 1
	s_delay_alu instid0(SALU_CYCLE_1)
	s_mul_i32 s3, ttmp7, s3
	global_load_b64 v[4:5], v[4:5], off
	s_clause 0x1
	s_load_b256 s[12:19], s[0:1], 0x30
	s_load_b96 s[20:22], s[0:1], 0x20
	s_add_co_i32 s5, s5, s3
	s_cmp_eq_u32 s2, 0
	s_cselect_b32 s24, ttmp7, s5
	s_wait_kmcnt 0x0
	v_cmp_gt_i64_e64 s5, s[12:13], 0
	s_mul_u64 s[2:3], s[18:19], s[24:25]
	s_delay_alu instid0(SALU_CYCLE_1) | instskip(NEXT) | instid1(SALU_CYCLE_1)
	s_lshl_b64 s[2:3], s[2:3], 2
	s_add_nc_u64 s[2:3], s[16:17], s[2:3]
	s_wait_loadcnt 0x0
	v_cmp_lt_i32_e32 vcc_lo, v4, v5
	v_subrev_nc_u32_e32 v4, s22, v4
	v_subrev_nc_u32_e32 v1, s22, v5
	s_and_b32 s10, s5, vcc_lo
	s_delay_alu instid0(SALU_CYCLE_1)
	s_and_saveexec_b32 s5, s10
	s_cbranch_execz .LBB2_4
; %bb.2:
	s_load_b32 s0, s[0:1], 0x50
	s_mul_u64 s[8:9], s[8:9], s[24:25]
	v_ashrrev_i32_e32 v5, 31, v4
	s_lshl_b64 s[8:9], s[8:9], 2
	s_wait_xcnt 0x0
	s_mov_b32 s1, 0
	s_add_nc_u64 s[6:7], s[6:7], s[8:9]
	s_mov_b32 s10, s22
	v_lshl_add_u64 v[6:7], v[4:5], 3, s[20:21]
	v_lshl_add_u64 v[8:9], v[4:5], 2, s[6:7]
	s_mov_b32 s11, s1
	s_mov_b64 s[8:9], 1
	s_wait_kmcnt 0x0
	s_sub_nc_u64 s[6:7], s[0:1], s[10:11]
.LBB2_3:                                ; =>This Inner Loop Header: Depth=1
	global_load_b64 v[10:11], v[6:7], off
	global_load_b32 v3, v[8:9], off
	v_add_nc_u32_e32 v5, s8, v4
	v_cmp_ge_i64_e64 s0, s[8:9], s[12:13]
	s_wait_xcnt 0x1
	v_add_nc_u64_e32 v[6:7], 8, v[6:7]
	s_wait_xcnt 0x0
	v_add_nc_u64_e32 v[8:9], 4, v[8:9]
	s_add_nc_u64 s[8:9], s[8:9], 1
	s_wait_loadcnt 0x1
	v_add_nc_u64_e32 v[10:11], s[6:7], v[10:11]
	global_store_b64 v2, v[10:11], s[14:15] scale_offset
	s_wait_loadcnt 0x0
	global_store_b32 v2, v3, s[2:3] scale_offset
	s_wait_xcnt 0x0
	v_add_nc_u32_e32 v2, s4, v2
	v_cmp_ge_i32_e32 vcc_lo, v5, v1
	s_or_b32 s0, vcc_lo, s0
	s_delay_alu instid0(SALU_CYCLE_1) | instskip(NEXT) | instid1(SALU_CYCLE_1)
	s_and_b32 s0, exec_lo, s0
	s_or_b32 s1, s0, s1
	s_delay_alu instid0(SALU_CYCLE_1)
	s_and_not1_b32 exec_lo, exec_lo, s1
	s_cbranch_execnz .LBB2_3
.LBB2_4:
	s_or_b32 exec_lo, exec_lo, s5
	v_sub_nc_u32_e32 v2, v1, v4
	s_delay_alu instid0(VALU_DEP_1) | instskip(NEXT) | instid1(VALU_DEP_1)
	v_ashrrev_i32_e32 v3, 31, v2
	v_cmp_gt_i64_e32 vcc_lo, s[12:13], v[2:3]
	s_and_b32 exec_lo, exec_lo, vcc_lo
	s_cbranch_execz .LBB2_7
; %bb.5:
	v_mul_lo_u32 v1, v2, s4
	v_mov_b64_e32 v[4:5], -1
	s_mov_b32 s0, 0
	s_delay_alu instid0(VALU_DEP_2)
	v_add3_u32 v0, v0, v1, s23
	v_mov_b32_e32 v1, 0
.LBB2_6:                                ; =>This Inner Loop Header: Depth=1
	v_add_nc_u64_e32 v[2:3], 1, v[2:3]
	s_clause 0x1
	global_store_b64 v0, v[4:5], s[14:15] scale_offset
	global_store_b32 v0, v1, s[2:3] scale_offset
	s_wait_xcnt 0x0
	v_add_nc_u32_e32 v0, s4, v0
	v_cmp_le_i64_e32 vcc_lo, s[12:13], v[2:3]
	s_or_b32 s0, vcc_lo, s0
	s_delay_alu instid0(SALU_CYCLE_1)
	s_and_not1_b32 exec_lo, exec_lo, s0
	s_cbranch_execnz .LBB2_6
.LBB2_7:
	s_endpgm
	.section	.rodata,"a",@progbits
	.p2align	6, 0x0
	.amdhsa_kernel _ZN9rocsparseL30csr2ell_strided_batched_kernelILj512EiilEEvT2_PKT0_lPKT1_PKS1_21rocsparse_index_base_S1_PS1_PS2_lSA_
		.amdhsa_group_segment_fixed_size 0
		.amdhsa_private_segment_fixed_size 0
		.amdhsa_kernarg_size 84
		.amdhsa_user_sgpr_count 2
		.amdhsa_user_sgpr_dispatch_ptr 0
		.amdhsa_user_sgpr_queue_ptr 0
		.amdhsa_user_sgpr_kernarg_segment_ptr 1
		.amdhsa_user_sgpr_dispatch_id 0
		.amdhsa_user_sgpr_kernarg_preload_length 0
		.amdhsa_user_sgpr_kernarg_preload_offset 0
		.amdhsa_user_sgpr_private_segment_size 0
		.amdhsa_wavefront_size32 1
		.amdhsa_uses_dynamic_stack 0
		.amdhsa_enable_private_segment 0
		.amdhsa_system_sgpr_workgroup_id_x 1
		.amdhsa_system_sgpr_workgroup_id_y 1
		.amdhsa_system_sgpr_workgroup_id_z 0
		.amdhsa_system_sgpr_workgroup_info 0
		.amdhsa_system_vgpr_workitem_id 0
		.amdhsa_next_free_vgpr 12
		.amdhsa_next_free_sgpr 26
		.amdhsa_named_barrier_count 0
		.amdhsa_reserve_vcc 1
		.amdhsa_float_round_mode_32 0
		.amdhsa_float_round_mode_16_64 0
		.amdhsa_float_denorm_mode_32 3
		.amdhsa_float_denorm_mode_16_64 3
		.amdhsa_fp16_overflow 0
		.amdhsa_memory_ordered 1
		.amdhsa_forward_progress 1
		.amdhsa_inst_pref_size 5
		.amdhsa_round_robin_scheduling 0
		.amdhsa_exception_fp_ieee_invalid_op 0
		.amdhsa_exception_fp_denorm_src 0
		.amdhsa_exception_fp_ieee_div_zero 0
		.amdhsa_exception_fp_ieee_overflow 0
		.amdhsa_exception_fp_ieee_underflow 0
		.amdhsa_exception_fp_ieee_inexact 0
		.amdhsa_exception_int_div_zero 0
	.end_amdhsa_kernel
	.section	.text._ZN9rocsparseL30csr2ell_strided_batched_kernelILj512EiilEEvT2_PKT0_lPKT1_PKS1_21rocsparse_index_base_S1_PS1_PS2_lSA_,"axG",@progbits,_ZN9rocsparseL30csr2ell_strided_batched_kernelILj512EiilEEvT2_PKT0_lPKT1_PKS1_21rocsparse_index_base_S1_PS1_PS2_lSA_,comdat
.Lfunc_end2:
	.size	_ZN9rocsparseL30csr2ell_strided_batched_kernelILj512EiilEEvT2_PKT0_lPKT1_PKS1_21rocsparse_index_base_S1_PS1_PS2_lSA_, .Lfunc_end2-_ZN9rocsparseL30csr2ell_strided_batched_kernelILj512EiilEEvT2_PKT0_lPKT1_PKS1_21rocsparse_index_base_S1_PS1_PS2_lSA_
                                        ; -- End function
	.set _ZN9rocsparseL30csr2ell_strided_batched_kernelILj512EiilEEvT2_PKT0_lPKT1_PKS1_21rocsparse_index_base_S1_PS1_PS2_lSA_.num_vgpr, 12
	.set _ZN9rocsparseL30csr2ell_strided_batched_kernelILj512EiilEEvT2_PKT0_lPKT1_PKS1_21rocsparse_index_base_S1_PS1_PS2_lSA_.num_agpr, 0
	.set _ZN9rocsparseL30csr2ell_strided_batched_kernelILj512EiilEEvT2_PKT0_lPKT1_PKS1_21rocsparse_index_base_S1_PS1_PS2_lSA_.numbered_sgpr, 26
	.set _ZN9rocsparseL30csr2ell_strided_batched_kernelILj512EiilEEvT2_PKT0_lPKT1_PKS1_21rocsparse_index_base_S1_PS1_PS2_lSA_.num_named_barrier, 0
	.set _ZN9rocsparseL30csr2ell_strided_batched_kernelILj512EiilEEvT2_PKT0_lPKT1_PKS1_21rocsparse_index_base_S1_PS1_PS2_lSA_.private_seg_size, 0
	.set _ZN9rocsparseL30csr2ell_strided_batched_kernelILj512EiilEEvT2_PKT0_lPKT1_PKS1_21rocsparse_index_base_S1_PS1_PS2_lSA_.uses_vcc, 1
	.set _ZN9rocsparseL30csr2ell_strided_batched_kernelILj512EiilEEvT2_PKT0_lPKT1_PKS1_21rocsparse_index_base_S1_PS1_PS2_lSA_.uses_flat_scratch, 0
	.set _ZN9rocsparseL30csr2ell_strided_batched_kernelILj512EiilEEvT2_PKT0_lPKT1_PKS1_21rocsparse_index_base_S1_PS1_PS2_lSA_.has_dyn_sized_stack, 0
	.set _ZN9rocsparseL30csr2ell_strided_batched_kernelILj512EiilEEvT2_PKT0_lPKT1_PKS1_21rocsparse_index_base_S1_PS1_PS2_lSA_.has_recursion, 0
	.set _ZN9rocsparseL30csr2ell_strided_batched_kernelILj512EiilEEvT2_PKT0_lPKT1_PKS1_21rocsparse_index_base_S1_PS1_PS2_lSA_.has_indirect_call, 0
	.section	.AMDGPU.csdata,"",@progbits
; Kernel info:
; codeLenInByte = 548
; TotalNumSgprs: 28
; NumVgprs: 12
; ScratchSize: 0
; MemoryBound: 0
; FloatMode: 240
; IeeeMode: 1
; LDSByteSize: 0 bytes/workgroup (compile time only)
; SGPRBlocks: 0
; VGPRBlocks: 0
; NumSGPRsForWavesPerEU: 28
; NumVGPRsForWavesPerEU: 12
; NamedBarCnt: 0
; Occupancy: 16
; WaveLimiterHint : 0
; COMPUTE_PGM_RSRC2:SCRATCH_EN: 0
; COMPUTE_PGM_RSRC2:USER_SGPR: 2
; COMPUTE_PGM_RSRC2:TRAP_HANDLER: 0
; COMPUTE_PGM_RSRC2:TGID_X_EN: 1
; COMPUTE_PGM_RSRC2:TGID_Y_EN: 1
; COMPUTE_PGM_RSRC2:TGID_Z_EN: 0
; COMPUTE_PGM_RSRC2:TIDIG_COMP_CNT: 0
	.section	.text._ZN9rocsparseL30csr2ell_strided_batched_kernelILj512EillEEvT2_PKT0_lPKT1_PKS1_21rocsparse_index_base_S1_PS1_PS2_lSA_,"axG",@progbits,_ZN9rocsparseL30csr2ell_strided_batched_kernelILj512EillEEvT2_PKT0_lPKT1_PKS1_21rocsparse_index_base_S1_PS1_PS2_lSA_,comdat
	.globl	_ZN9rocsparseL30csr2ell_strided_batched_kernelILj512EillEEvT2_PKT0_lPKT1_PKS1_21rocsparse_index_base_S1_PS1_PS2_lSA_ ; -- Begin function _ZN9rocsparseL30csr2ell_strided_batched_kernelILj512EillEEvT2_PKT0_lPKT1_PKS1_21rocsparse_index_base_S1_PS1_PS2_lSA_
	.p2align	8
	.type	_ZN9rocsparseL30csr2ell_strided_batched_kernelILj512EillEEvT2_PKT0_lPKT1_PKS1_21rocsparse_index_base_S1_PS1_PS2_lSA_,@function
_ZN9rocsparseL30csr2ell_strided_batched_kernelILj512EillEEvT2_PKT0_lPKT1_PKS1_21rocsparse_index_base_S1_PS1_PS2_lSA_: ; @_ZN9rocsparseL30csr2ell_strided_batched_kernelILj512EillEEvT2_PKT0_lPKT1_PKS1_21rocsparse_index_base_S1_PS1_PS2_lSA_
; %bb.0:
	s_load_b256 s[4:11], s[0:1], 0x0
	s_bfe_u32 s2, ttmp6, 0x4000c
	s_and_b32 s3, ttmp6, 15
	s_add_co_i32 s2, s2, 1
	v_mov_b32_e32 v5, 0
	s_mul_i32 s12, ttmp9, s2
	s_getreg_b32 s2, hwreg(HW_REG_IB_STS2, 6, 4)
	s_add_co_i32 s3, s3, s12
	s_cmp_eq_u32 s2, 0
	s_mov_b32 s25, 0
	s_cselect_b32 s3, ttmp9, s3
	s_delay_alu instid0(SALU_CYCLE_1) | instskip(SKIP_2) | instid1(VALU_DEP_1)
	v_lshl_or_b32 v4, s3, 9, v0
	s_mov_b32 s3, exec_lo
	s_wait_kmcnt 0x0
	v_cmpx_gt_i64_e64 s[4:5], v[4:5]
	s_cbranch_execz .LBB3_7
; %bb.1:
	v_lshl_add_u64 v[0:1], v[4:5], 3, s[10:11]
	s_mov_b32 s11, s25
	s_bfe_u32 s3, ttmp6, 0x40010
	s_bfe_u32 s23, ttmp6, 0x40004
	s_add_co_i32 s3, s3, 1
	global_load_b128 v[0:3], v[0:1], off
	s_clause 0x1
	s_load_b96 s[20:22], s[0:1], 0x20
	s_load_b256 s[12:19], s[0:1], 0x30
	s_mul_i32 s3, ttmp7, s3
	s_delay_alu instid0(SALU_CYCLE_1)
	s_add_co_i32 s23, s23, s3
	s_cmp_eq_u32 s2, 0
	s_cselect_b32 s24, ttmp7, s23
	s_wait_kmcnt 0x0
	s_mov_b32 s10, s22
	v_cmp_gt_i64_e64 s26, s[12:13], 0
	s_mul_u64 s[2:3], s[18:19], s[24:25]
	s_wait_loadcnt 0x0
	v_sub_nc_u64_e64 v[6:7], v[0:1], s[10:11]
	v_sub_nc_u64_e64 v[2:3], v[2:3], s[10:11]
	s_delay_alu instid0(VALU_DEP_2) | instskip(NEXT) | instid1(VALU_DEP_1)
	v_dual_mov_b32 v8, v6 :: v_dual_ashrrev_i32 v9, 31, v6
	v_cmp_gt_i64_e32 vcc_lo, v[2:3], v[8:9]
	s_and_b32 s18, s26, vcc_lo
	s_delay_alu instid0(SALU_CYCLE_1)
	s_and_saveexec_b32 s23, s18
	s_cbranch_execz .LBB3_4
; %bb.2:
	s_load_b32 s0, s[0:1], 0x50
	v_subrev_nc_u32_e32 v0, s22, v0
	s_mul_u64 s[8:9], s[8:9], s[24:25]
	s_wait_xcnt 0x0
	s_mov_b32 s1, 0
	s_lshl_b64 s[18:19], s[2:3], 2
	v_dual_mov_b32 v10, v4 :: v_dual_add_nc_u32 v0, 1, v0
	v_mov_b32_e32 v11, v6
	s_lshl_b64 s[24:25], s[8:9], 2
	s_add_nc_u64 s[8:9], s[16:17], s[18:19]
	s_add_nc_u64 s[6:7], s[6:7], s[24:25]
	v_ashrrev_i32_e32 v1, 31, v0
	s_mov_b64 s[18:19], 1
	s_wait_kmcnt 0x0
	s_sub_nc_u64 s[10:11], s[0:1], s[10:11]
.LBB3_3:                                ; =>This Inner Loop Header: Depth=1
	s_delay_alu instid0(VALU_DEP_2)
	v_lshl_add_u64 v[12:13], v[8:9], 3, s[20:21]
	v_lshl_add_u64 v[8:9], v[8:9], 2, s[6:7]
	v_cmp_ge_i64_e64 s0, s[18:19], s[12:13]
	global_load_b64 v[12:13], v[12:13], off
	global_load_b32 v16, v[8:9], off
	s_wait_xcnt 0x0
	v_add_nc_u64_e32 v[8:9], s[18:19], v[0:1]
	s_add_nc_u64 s[18:19], s[18:19], 1
	s_delay_alu instid0(VALU_DEP_1) | instskip(SKIP_1) | instid1(VALU_DEP_2)
	v_add_nc_u64_e32 v[14:15], -1, v[8:9]
	v_add_nc_u32_e32 v8, 1, v11
	v_cmp_le_i64_e32 vcc_lo, v[2:3], v[14:15]
	s_or_b32 s0, vcc_lo, s0
	s_delay_alu instid0(SALU_CYCLE_1) | instskip(NEXT) | instid1(SALU_CYCLE_1)
	s_and_b32 s0, exec_lo, s0
	s_or_b32 s1, s0, s1
	s_wait_loadcnt 0x1
	v_add_nc_u64_e32 v[12:13], s[10:11], v[12:13]
	global_store_b64 v10, v[12:13], s[14:15] scale_offset
	s_wait_loadcnt 0x0
	global_store_b32 v10, v16, s[8:9] scale_offset
	s_wait_xcnt 0x0
	v_dual_add_nc_u32 v10, s4, v10 :: v_dual_ashrrev_i32 v9, 31, v8
	v_mov_b32_e32 v11, v8
	s_and_not1_b32 exec_lo, exec_lo, s1
	s_cbranch_execnz .LBB3_3
.LBB3_4:
	s_or_b32 exec_lo, exec_lo, s23
	v_sub_nc_u64_e32 v[0:1], v[2:3], v[6:7]
	s_delay_alu instid0(VALU_DEP_1)
	v_cmp_gt_i64_e32 vcc_lo, s[12:13], v[0:1]
	s_and_b32 exec_lo, exec_lo, vcc_lo
	s_cbranch_execz .LBB3_7
; %bb.5:
	v_mul_u64_e32 v[2:3], s[4:5], v[0:1]
	v_lshlrev_b64_e32 v[6:7], 3, v[4:5]
	s_lshl_b64 s[0:1], s[2:3], 2
	s_lshl_b64 s[2:3], s[4:5], 2
	s_delay_alu instid0(VALU_DEP_2) | instskip(NEXT) | instid1(VALU_DEP_2)
	v_lshl_add_u64 v[8:9], v[2:3], 2, s[0:1]
	v_lshl_add_u64 v[2:3], v[2:3], 3, v[6:7]
	v_mov_b64_e32 v[6:7], -1
	s_lshl_b64 s[0:1], s[4:5], 3
	s_mov_b32 s4, 0
	v_lshl_add_u64 v[4:5], v[4:5], 2, v[8:9]
	v_add_nc_u64_e32 v[2:3], s[14:15], v[2:3]
	v_mov_b32_e32 v8, 0
	s_delay_alu instid0(VALU_DEP_3)
	v_add_nc_u64_e32 v[4:5], s[16:17], v[4:5]
.LBB3_6:                                ; =>This Inner Loop Header: Depth=1
	v_add_nc_u64_e32 v[0:1], 1, v[0:1]
	global_store_b64 v[2:3], v[6:7], off
	global_store_b32 v[4:5], v8, off
	s_wait_xcnt 0x1
	v_add_nc_u64_e32 v[2:3], s[0:1], v[2:3]
	s_wait_xcnt 0x0
	v_add_nc_u64_e32 v[4:5], s[2:3], v[4:5]
	v_cmp_le_i64_e32 vcc_lo, s[12:13], v[0:1]
	s_or_b32 s4, vcc_lo, s4
	s_delay_alu instid0(SALU_CYCLE_1)
	s_and_not1_b32 exec_lo, exec_lo, s4
	s_cbranch_execnz .LBB3_6
.LBB3_7:
	s_endpgm
	.section	.rodata,"a",@progbits
	.p2align	6, 0x0
	.amdhsa_kernel _ZN9rocsparseL30csr2ell_strided_batched_kernelILj512EillEEvT2_PKT0_lPKT1_PKS1_21rocsparse_index_base_S1_PS1_PS2_lSA_
		.amdhsa_group_segment_fixed_size 0
		.amdhsa_private_segment_fixed_size 0
		.amdhsa_kernarg_size 84
		.amdhsa_user_sgpr_count 2
		.amdhsa_user_sgpr_dispatch_ptr 0
		.amdhsa_user_sgpr_queue_ptr 0
		.amdhsa_user_sgpr_kernarg_segment_ptr 1
		.amdhsa_user_sgpr_dispatch_id 0
		.amdhsa_user_sgpr_kernarg_preload_length 0
		.amdhsa_user_sgpr_kernarg_preload_offset 0
		.amdhsa_user_sgpr_private_segment_size 0
		.amdhsa_wavefront_size32 1
		.amdhsa_uses_dynamic_stack 0
		.amdhsa_enable_private_segment 0
		.amdhsa_system_sgpr_workgroup_id_x 1
		.amdhsa_system_sgpr_workgroup_id_y 1
		.amdhsa_system_sgpr_workgroup_id_z 0
		.amdhsa_system_sgpr_workgroup_info 0
		.amdhsa_system_vgpr_workitem_id 0
		.amdhsa_next_free_vgpr 17
		.amdhsa_next_free_sgpr 27
		.amdhsa_named_barrier_count 0
		.amdhsa_reserve_vcc 1
		.amdhsa_float_round_mode_32 0
		.amdhsa_float_round_mode_16_64 0
		.amdhsa_float_denorm_mode_32 3
		.amdhsa_float_denorm_mode_16_64 3
		.amdhsa_fp16_overflow 0
		.amdhsa_memory_ordered 1
		.amdhsa_forward_progress 1
		.amdhsa_inst_pref_size 5
		.amdhsa_round_robin_scheduling 0
		.amdhsa_exception_fp_ieee_invalid_op 0
		.amdhsa_exception_fp_denorm_src 0
		.amdhsa_exception_fp_ieee_div_zero 0
		.amdhsa_exception_fp_ieee_overflow 0
		.amdhsa_exception_fp_ieee_underflow 0
		.amdhsa_exception_fp_ieee_inexact 0
		.amdhsa_exception_int_div_zero 0
	.end_amdhsa_kernel
	.section	.text._ZN9rocsparseL30csr2ell_strided_batched_kernelILj512EillEEvT2_PKT0_lPKT1_PKS1_21rocsparse_index_base_S1_PS1_PS2_lSA_,"axG",@progbits,_ZN9rocsparseL30csr2ell_strided_batched_kernelILj512EillEEvT2_PKT0_lPKT1_PKS1_21rocsparse_index_base_S1_PS1_PS2_lSA_,comdat
.Lfunc_end3:
	.size	_ZN9rocsparseL30csr2ell_strided_batched_kernelILj512EillEEvT2_PKT0_lPKT1_PKS1_21rocsparse_index_base_S1_PS1_PS2_lSA_, .Lfunc_end3-_ZN9rocsparseL30csr2ell_strided_batched_kernelILj512EillEEvT2_PKT0_lPKT1_PKS1_21rocsparse_index_base_S1_PS1_PS2_lSA_
                                        ; -- End function
	.set _ZN9rocsparseL30csr2ell_strided_batched_kernelILj512EillEEvT2_PKT0_lPKT1_PKS1_21rocsparse_index_base_S1_PS1_PS2_lSA_.num_vgpr, 17
	.set _ZN9rocsparseL30csr2ell_strided_batched_kernelILj512EillEEvT2_PKT0_lPKT1_PKS1_21rocsparse_index_base_S1_PS1_PS2_lSA_.num_agpr, 0
	.set _ZN9rocsparseL30csr2ell_strided_batched_kernelILj512EillEEvT2_PKT0_lPKT1_PKS1_21rocsparse_index_base_S1_PS1_PS2_lSA_.numbered_sgpr, 27
	.set _ZN9rocsparseL30csr2ell_strided_batched_kernelILj512EillEEvT2_PKT0_lPKT1_PKS1_21rocsparse_index_base_S1_PS1_PS2_lSA_.num_named_barrier, 0
	.set _ZN9rocsparseL30csr2ell_strided_batched_kernelILj512EillEEvT2_PKT0_lPKT1_PKS1_21rocsparse_index_base_S1_PS1_PS2_lSA_.private_seg_size, 0
	.set _ZN9rocsparseL30csr2ell_strided_batched_kernelILj512EillEEvT2_PKT0_lPKT1_PKS1_21rocsparse_index_base_S1_PS1_PS2_lSA_.uses_vcc, 1
	.set _ZN9rocsparseL30csr2ell_strided_batched_kernelILj512EillEEvT2_PKT0_lPKT1_PKS1_21rocsparse_index_base_S1_PS1_PS2_lSA_.uses_flat_scratch, 0
	.set _ZN9rocsparseL30csr2ell_strided_batched_kernelILj512EillEEvT2_PKT0_lPKT1_PKS1_21rocsparse_index_base_S1_PS1_PS2_lSA_.has_dyn_sized_stack, 0
	.set _ZN9rocsparseL30csr2ell_strided_batched_kernelILj512EillEEvT2_PKT0_lPKT1_PKS1_21rocsparse_index_base_S1_PS1_PS2_lSA_.has_recursion, 0
	.set _ZN9rocsparseL30csr2ell_strided_batched_kernelILj512EillEEvT2_PKT0_lPKT1_PKS1_21rocsparse_index_base_S1_PS1_PS2_lSA_.has_indirect_call, 0
	.section	.AMDGPU.csdata,"",@progbits
; Kernel info:
; codeLenInByte = 636
; TotalNumSgprs: 29
; NumVgprs: 17
; ScratchSize: 0
; MemoryBound: 0
; FloatMode: 240
; IeeeMode: 1
; LDSByteSize: 0 bytes/workgroup (compile time only)
; SGPRBlocks: 0
; VGPRBlocks: 1
; NumSGPRsForWavesPerEU: 29
; NumVGPRsForWavesPerEU: 17
; NamedBarCnt: 0
; Occupancy: 16
; WaveLimiterHint : 0
; COMPUTE_PGM_RSRC2:SCRATCH_EN: 0
; COMPUTE_PGM_RSRC2:USER_SGPR: 2
; COMPUTE_PGM_RSRC2:TRAP_HANDLER: 0
; COMPUTE_PGM_RSRC2:TGID_X_EN: 1
; COMPUTE_PGM_RSRC2:TGID_Y_EN: 1
; COMPUTE_PGM_RSRC2:TGID_Z_EN: 0
; COMPUTE_PGM_RSRC2:TIDIG_COMP_CNT: 0
	.section	.text._ZN9rocsparseL30csr2ell_strided_batched_kernelILj512EfiiEEvT2_PKT0_lPKT1_PKS1_21rocsparse_index_base_S1_PS1_PS2_lSA_,"axG",@progbits,_ZN9rocsparseL30csr2ell_strided_batched_kernelILj512EfiiEEvT2_PKT0_lPKT1_PKS1_21rocsparse_index_base_S1_PS1_PS2_lSA_,comdat
	.globl	_ZN9rocsparseL30csr2ell_strided_batched_kernelILj512EfiiEEvT2_PKT0_lPKT1_PKS1_21rocsparse_index_base_S1_PS1_PS2_lSA_ ; -- Begin function _ZN9rocsparseL30csr2ell_strided_batched_kernelILj512EfiiEEvT2_PKT0_lPKT1_PKS1_21rocsparse_index_base_S1_PS1_PS2_lSA_
	.p2align	8
	.type	_ZN9rocsparseL30csr2ell_strided_batched_kernelILj512EfiiEEvT2_PKT0_lPKT1_PKS1_21rocsparse_index_base_S1_PS1_PS2_lSA_,@function
_ZN9rocsparseL30csr2ell_strided_batched_kernelILj512EfiiEEvT2_PKT0_lPKT1_PKS1_21rocsparse_index_base_S1_PS1_PS2_lSA_: ; @_ZN9rocsparseL30csr2ell_strided_batched_kernelILj512EfiiEEvT2_PKT0_lPKT1_PKS1_21rocsparse_index_base_S1_PS1_PS2_lSA_
; %bb.0:
	s_load_b32 s16, s[0:1], 0x0
	s_bfe_u32 s2, ttmp6, 0x4000c
	s_and_b32 s3, ttmp6, 15
	s_add_co_i32 s2, s2, 1
	s_delay_alu instid0(SALU_CYCLE_1)
	s_mul_i32 s4, ttmp9, s2
	s_getreg_b32 s2, hwreg(HW_REG_IB_STS2, 6, 4)
	s_add_co_i32 s3, s3, s4
	s_cmp_eq_u32 s2, 0
	s_mov_b32 s4, exec_lo
	s_cselect_b32 s3, ttmp9, s3
	s_delay_alu instid0(SALU_CYCLE_1) | instskip(SKIP_3) | instid1(VALU_DEP_1)
	s_lshl_b32 s17, s3, 9
	s_mov_b32 s3, 0
	v_or_b32_e32 v2, s17, v0
	s_wait_kmcnt 0x0
	v_cmpx_gt_i32_e64 s16, v2
	s_cbranch_execz .LBB4_22
; %bb.1:
	s_load_b256 s[4:11], s[0:1], 0x8
	v_ashrrev_i32_e32 v3, 31, v2
	s_bfe_u32 s20, ttmp6, 0x40010
	s_bfe_u32 s21, ttmp6, 0x40004
	s_add_co_i32 s20, s20, 1
	s_delay_alu instid0(SALU_CYCLE_1) | instskip(NEXT) | instid1(SALU_CYCLE_1)
	s_mul_i32 s20, ttmp7, s20
	s_add_co_i32 s21, s21, s20
	s_cmp_eq_u32 s2, 0
	s_cselect_b32 s2, ttmp7, s21
	s_wait_kmcnt 0x0
	v_lshl_add_u64 v[4:5], v[2:3], 2, s[8:9]
	global_load_b64 v[10:11], v[4:5], off
	s_clause 0x2
	s_load_b64 s[18:19], s[0:1], 0x40
	s_load_b64 s[8:9], s[0:1], 0x28
	s_load_b128 s[12:15], s[0:1], 0x30
	s_wait_kmcnt 0x0
	s_mul_u64 s[18:19], s[18:19], s[2:3]
	s_delay_alu instid0(SALU_CYCLE_1)
	s_lshl_b64 s[18:19], s[18:19], 2
	s_cmp_gt_i32 s9, 0
	s_add_nc_u64 s[14:15], s[14:15], s[18:19]
	s_cselect_b32 s20, -1, 0
	s_wait_loadcnt 0x0
	v_cmp_lt_i32_e32 vcc_lo, v10, v11
	v_subrev_nc_u32_e32 v4, s8, v10
	v_subrev_nc_u32_e32 v1, s8, v11
	s_and_b32 s19, s20, vcc_lo
	s_delay_alu instid0(SALU_CYCLE_1)
	s_and_saveexec_b32 s18, s19
	s_cbranch_execz .LBB4_4
; %bb.2:
	s_load_b32 s19, s[0:1], 0x48
	v_dual_ashrrev_i32 v5, 31, v4 :: v_dual_mov_b32 v3, v2
	s_wait_xcnt 0x0
	s_mul_u64 s[0:1], s[6:7], s[2:3]
	s_mov_b32 s2, 0
	s_lshl_b64 s[0:1], s[0:1], 2
	v_lshlrev_b64_e32 v[8:9], 2, v[4:5]
	s_add_nc_u64 s[0:1], s[4:5], s[0:1]
	s_delay_alu instid0(VALU_DEP_1)
	v_add_nc_u64_e32 v[6:7], s[10:11], v[8:9]
	v_add_nc_u64_e32 v[8:9], s[0:1], v[8:9]
	s_mov_b32 s0, 1
	s_wait_kmcnt 0x0
	s_sub_co_i32 s1, s19, s8
.LBB4_3:                                ; =>This Inner Loop Header: Depth=1
	global_load_b32 v5, v[6:7], off
	global_load_b32 v12, v[8:9], off
	v_add_nc_u32_e32 v13, s0, v4
	s_cmp_ge_i32 s0, s9
	s_wait_xcnt 0x1
	v_add_nc_u64_e32 v[6:7], 4, v[6:7]
	s_cselect_b32 s3, -1, 0
	s_wait_xcnt 0x0
	v_add_nc_u64_e32 v[8:9], 4, v[8:9]
	s_add_co_i32 s0, s0, 1
	s_wait_loadcnt 0x1
	v_add_nc_u32_e32 v5, s1, v5
	v_cmp_ge_i32_e32 vcc_lo, v13, v1
	global_store_b32 v3, v5, s[12:13] scale_offset
	s_wait_loadcnt 0x0
	global_store_b32 v3, v12, s[14:15] scale_offset
	s_or_b32 s3, vcc_lo, s3
	s_wait_xcnt 0x0
	v_add_nc_u32_e32 v3, s16, v3
	s_and_b32 s3, exec_lo, s3
	s_delay_alu instid0(SALU_CYCLE_1) | instskip(NEXT) | instid1(SALU_CYCLE_1)
	s_or_b32 s2, s3, s2
	s_and_not1_b32 exec_lo, exec_lo, s2
	s_cbranch_execnz .LBB4_3
.LBB4_4:
	s_or_b32 exec_lo, exec_lo, s18
	v_sub_nc_u32_e32 v1, v1, v4
	s_delay_alu instid0(VALU_DEP_1)
	v_cmp_gt_i32_e32 vcc_lo, s9, v1
	s_and_b32 exec_lo, exec_lo, vcc_lo
	s_cbranch_execz .LBB4_22
; %bb.5:
	v_add_nc_u32_e32 v3, s9, v10
	s_mov_b32 s5, exec_lo
	s_delay_alu instid0(VALU_DEP_1) | instskip(NEXT) | instid1(VALU_DEP_1)
	v_sub_nc_u32_e32 v14, v3, v11
	v_cmp_gt_u32_e64 s4, 2, v14
	v_cmpx_lt_u32_e32 1, v14
	s_cbranch_execz .LBB4_19
; %bb.6:
	v_add_nc_u32_e32 v2, v2, v11
	v_not_b32_e32 v4, v11
	s_cmp_eq_u32 s16, 1
	s_cselect_b32 s0, -1, 0
	s_delay_alu instid0(VALU_DEP_2) | instskip(NEXT) | instid1(VALU_DEP_1)
	v_sub_nc_u32_e32 v12, v2, v10
	v_add3_u32 v2, v3, v4, v12
	s_delay_alu instid0(VALU_DEP_1)
	v_cmp_ge_i32_e32 vcc_lo, v2, v12
	s_and_b32 s1, s0, vcc_lo
	s_mov_b32 s0, -1
	s_and_saveexec_b32 s6, s1
	s_cbranch_execz .LBB4_18
; %bb.7:
	v_mov_b32_e32 v7, 0
	s_mov_b32 s2, -1
	s_mov_b32 s0, 0
	s_mov_b32 s7, exec_lo
                                        ; implicit-def: $vgpr2
	v_cmpx_lt_u32_e32 15, v14
	s_cbranch_execz .LBB4_13
; %bb.8:
	s_mov_b32 s20, -1
	v_and_b32_e32 v15, -16, v14
	s_mov_b32 s21, s20
	s_mov_b32 s2, s0
	;; [unrolled: 1-line block ×6, first 2 shown]
	v_mov_b64_e32 v[2:3], s[20:21]
	v_mov_b64_e32 v[8:9], s[2:3]
	;; [unrolled: 1-line block ×4, first 2 shown]
	v_mov_b32_e32 v16, v15
.LBB4_9:                                ; =>This Inner Loop Header: Depth=1
	v_ashrrev_i32_e32 v13, 31, v12
	s_delay_alu instid0(VALU_DEP_2) | instskip(NEXT) | instid1(VALU_DEP_2)
	v_add_nc_u32_e32 v16, -16, v16
	v_lshlrev_b64_e32 v[18:19], 2, v[12:13]
	s_delay_alu instid0(VALU_DEP_2) | instskip(SKIP_2) | instid1(VALU_DEP_3)
	v_cmp_eq_u32_e32 vcc_lo, 0, v16
	v_add_nc_u32_e32 v12, 16, v12
	s_or_b32 s0, vcc_lo, s0
	v_add_nc_u64_e32 v[20:21], s[12:13], v[18:19]
	v_add_nc_u64_e32 v[18:19], s[14:15], v[18:19]
	s_clause 0x3
	global_store_b128 v[20:21], v[2:5], off
	global_store_b128 v[20:21], v[2:5], off offset:16
	global_store_b128 v[20:21], v[2:5], off offset:32
	;; [unrolled: 1-line block ×3, first 2 shown]
	s_clause 0x3
	global_store_b128 v[18:19], v[6:9], off
	global_store_b128 v[18:19], v[6:9], off offset:16
	global_store_b128 v[18:19], v[6:9], off offset:32
	;; [unrolled: 1-line block ×3, first 2 shown]
	s_wait_xcnt 0x0
	s_and_not1_b32 exec_lo, exec_lo, s0
	s_cbranch_execnz .LBB4_9
; %bb.10:
	s_or_b32 exec_lo, exec_lo, s0
	v_mov_b32_e32 v7, 0
	s_mov_b32 s2, 0
	s_mov_b32 s0, 0
	s_mov_b32 s1, exec_lo
                                        ; implicit-def: $vgpr2
	v_cmpx_ne_u32_e64 v14, v15
; %bb.11:
	v_dual_mov_b32 v7, v15 :: v_dual_bitop2_b32 v2, 14, v14 bitop3:0x40
	s_mov_b32 s0, exec_lo
	s_delay_alu instid0(VALU_DEP_1)
	v_cmp_ne_u32_e32 vcc_lo, 0, v2
	v_add_nc_u32_e32 v2, v1, v15
	s_and_b32 s2, vcc_lo, exec_lo
; %bb.12:
	s_or_b32 exec_lo, exec_lo, s1
	s_delay_alu instid0(SALU_CYCLE_1)
	s_and_b32 s0, s0, exec_lo
	s_or_not1_b32 s2, s2, exec_lo
.LBB4_13:
	s_or_b32 exec_lo, exec_lo, s7
	s_and_saveexec_b32 s1, s2
	s_cbranch_execz .LBB4_17
; %bb.14:
	v_dual_add_nc_u32 v2, v11, v0 :: v_dual_bitop2_b32 v8, -2, v14 bitop3:0x40
	v_mov_b64_e32 v[4:5], 0
	s_mov_b32 s2, 0
	s_delay_alu instid0(VALU_DEP_2) | instskip(SKIP_1) | instid1(VALU_DEP_2)
	v_add3_u32 v6, v2, v7, s17
	v_mov_b64_e32 v[2:3], -1
	v_dual_sub_nc_u32 v9, v7, v8 :: v_dual_sub_nc_u32 v6, v6, v10
.LBB4_15:                               ; =>This Inner Loop Header: Depth=1
	s_delay_alu instid0(VALU_DEP_1) | instskip(NEXT) | instid1(VALU_DEP_1)
	v_dual_ashrrev_i32 v7, 31, v6 :: v_dual_add_nc_u32 v9, 2, v9
	v_lshlrev_b64_e32 v[10:11], 2, v[6:7]
	s_delay_alu instid0(VALU_DEP_2) | instskip(SKIP_2) | instid1(VALU_DEP_3)
	v_cmp_eq_u32_e32 vcc_lo, 0, v9
	v_add_nc_u32_e32 v6, 2, v6
	s_or_b32 s2, vcc_lo, s2
	v_add_nc_u64_e32 v[12:13], s[12:13], v[10:11]
	v_add_nc_u64_e32 v[10:11], s[14:15], v[10:11]
	global_store_b64 v[12:13], v[2:3], off
	global_store_b64 v[10:11], v[4:5], off
	s_wait_xcnt 0x0
	s_and_not1_b32 exec_lo, exec_lo, s2
	s_cbranch_execnz .LBB4_15
; %bb.16:
	s_or_b32 exec_lo, exec_lo, s2
	v_cmp_ne_u32_e32 vcc_lo, v14, v8
	v_add_nc_u32_e32 v2, v1, v8
	s_and_not1_b32 s0, s0, exec_lo
	s_and_b32 s2, vcc_lo, exec_lo
	s_delay_alu instid0(SALU_CYCLE_1)
	s_or_b32 s0, s0, s2
.LBB4_17:
	s_or_b32 exec_lo, exec_lo, s1
	v_mov_b32_e32 v1, v2
	s_or_not1_b32 s0, s0, exec_lo
.LBB4_18:
	s_or_b32 exec_lo, exec_lo, s6
	s_delay_alu instid0(SALU_CYCLE_1) | instskip(SKIP_1) | instid1(SALU_CYCLE_1)
	s_and_not1_b32 s1, s4, exec_lo
	s_and_b32 s0, s0, exec_lo
	s_or_b32 s4, s1, s0
.LBB4_19:
	s_or_b32 exec_lo, exec_lo, s5
	s_delay_alu instid0(SALU_CYCLE_1)
	s_and_b32 exec_lo, exec_lo, s4
	s_cbranch_execz .LBB4_22
; %bb.20:
	v_mul_lo_u32 v3, v1, s16
	v_mov_b32_e32 v2, -1
	s_mov_b32 s0, 0
	s_delay_alu instid0(VALU_DEP_2)
	v_add3_u32 v0, v0, v3, s17
	v_mov_b32_e32 v3, 0
.LBB4_21:                               ; =>This Inner Loop Header: Depth=1
	v_add_nc_u32_e32 v1, 1, v1
	s_clause 0x1
	global_store_b32 v0, v2, s[12:13] scale_offset
	global_store_b32 v0, v3, s[14:15] scale_offset
	s_wait_xcnt 0x0
	v_add_nc_u32_e32 v0, s16, v0
	v_cmp_le_i32_e32 vcc_lo, s9, v1
	s_or_b32 s0, vcc_lo, s0
	s_delay_alu instid0(SALU_CYCLE_1)
	s_and_not1_b32 exec_lo, exec_lo, s0
	s_cbranch_execnz .LBB4_21
.LBB4_22:
	s_endpgm
	.section	.rodata,"a",@progbits
	.p2align	6, 0x0
	.amdhsa_kernel _ZN9rocsparseL30csr2ell_strided_batched_kernelILj512EfiiEEvT2_PKT0_lPKT1_PKS1_21rocsparse_index_base_S1_PS1_PS2_lSA_
		.amdhsa_group_segment_fixed_size 0
		.amdhsa_private_segment_fixed_size 0
		.amdhsa_kernarg_size 76
		.amdhsa_user_sgpr_count 2
		.amdhsa_user_sgpr_dispatch_ptr 0
		.amdhsa_user_sgpr_queue_ptr 0
		.amdhsa_user_sgpr_kernarg_segment_ptr 1
		.amdhsa_user_sgpr_dispatch_id 0
		.amdhsa_user_sgpr_kernarg_preload_length 0
		.amdhsa_user_sgpr_kernarg_preload_offset 0
		.amdhsa_user_sgpr_private_segment_size 0
		.amdhsa_wavefront_size32 1
		.amdhsa_uses_dynamic_stack 0
		.amdhsa_enable_private_segment 0
		.amdhsa_system_sgpr_workgroup_id_x 1
		.amdhsa_system_sgpr_workgroup_id_y 1
		.amdhsa_system_sgpr_workgroup_id_z 0
		.amdhsa_system_sgpr_workgroup_info 0
		.amdhsa_system_vgpr_workitem_id 0
		.amdhsa_next_free_vgpr 22
		.amdhsa_next_free_sgpr 24
		.amdhsa_named_barrier_count 0
		.amdhsa_reserve_vcc 1
		.amdhsa_float_round_mode_32 0
		.amdhsa_float_round_mode_16_64 0
		.amdhsa_float_denorm_mode_32 3
		.amdhsa_float_denorm_mode_16_64 3
		.amdhsa_fp16_overflow 0
		.amdhsa_memory_ordered 1
		.amdhsa_forward_progress 1
		.amdhsa_inst_pref_size 10
		.amdhsa_round_robin_scheduling 0
		.amdhsa_exception_fp_ieee_invalid_op 0
		.amdhsa_exception_fp_denorm_src 0
		.amdhsa_exception_fp_ieee_div_zero 0
		.amdhsa_exception_fp_ieee_overflow 0
		.amdhsa_exception_fp_ieee_underflow 0
		.amdhsa_exception_fp_ieee_inexact 0
		.amdhsa_exception_int_div_zero 0
	.end_amdhsa_kernel
	.section	.text._ZN9rocsparseL30csr2ell_strided_batched_kernelILj512EfiiEEvT2_PKT0_lPKT1_PKS1_21rocsparse_index_base_S1_PS1_PS2_lSA_,"axG",@progbits,_ZN9rocsparseL30csr2ell_strided_batched_kernelILj512EfiiEEvT2_PKT0_lPKT1_PKS1_21rocsparse_index_base_S1_PS1_PS2_lSA_,comdat
.Lfunc_end4:
	.size	_ZN9rocsparseL30csr2ell_strided_batched_kernelILj512EfiiEEvT2_PKT0_lPKT1_PKS1_21rocsparse_index_base_S1_PS1_PS2_lSA_, .Lfunc_end4-_ZN9rocsparseL30csr2ell_strided_batched_kernelILj512EfiiEEvT2_PKT0_lPKT1_PKS1_21rocsparse_index_base_S1_PS1_PS2_lSA_
                                        ; -- End function
	.set _ZN9rocsparseL30csr2ell_strided_batched_kernelILj512EfiiEEvT2_PKT0_lPKT1_PKS1_21rocsparse_index_base_S1_PS1_PS2_lSA_.num_vgpr, 22
	.set _ZN9rocsparseL30csr2ell_strided_batched_kernelILj512EfiiEEvT2_PKT0_lPKT1_PKS1_21rocsparse_index_base_S1_PS1_PS2_lSA_.num_agpr, 0
	.set _ZN9rocsparseL30csr2ell_strided_batched_kernelILj512EfiiEEvT2_PKT0_lPKT1_PKS1_21rocsparse_index_base_S1_PS1_PS2_lSA_.numbered_sgpr, 24
	.set _ZN9rocsparseL30csr2ell_strided_batched_kernelILj512EfiiEEvT2_PKT0_lPKT1_PKS1_21rocsparse_index_base_S1_PS1_PS2_lSA_.num_named_barrier, 0
	.set _ZN9rocsparseL30csr2ell_strided_batched_kernelILj512EfiiEEvT2_PKT0_lPKT1_PKS1_21rocsparse_index_base_S1_PS1_PS2_lSA_.private_seg_size, 0
	.set _ZN9rocsparseL30csr2ell_strided_batched_kernelILj512EfiiEEvT2_PKT0_lPKT1_PKS1_21rocsparse_index_base_S1_PS1_PS2_lSA_.uses_vcc, 1
	.set _ZN9rocsparseL30csr2ell_strided_batched_kernelILj512EfiiEEvT2_PKT0_lPKT1_PKS1_21rocsparse_index_base_S1_PS1_PS2_lSA_.uses_flat_scratch, 0
	.set _ZN9rocsparseL30csr2ell_strided_batched_kernelILj512EfiiEEvT2_PKT0_lPKT1_PKS1_21rocsparse_index_base_S1_PS1_PS2_lSA_.has_dyn_sized_stack, 0
	.set _ZN9rocsparseL30csr2ell_strided_batched_kernelILj512EfiiEEvT2_PKT0_lPKT1_PKS1_21rocsparse_index_base_S1_PS1_PS2_lSA_.has_recursion, 0
	.set _ZN9rocsparseL30csr2ell_strided_batched_kernelILj512EfiiEEvT2_PKT0_lPKT1_PKS1_21rocsparse_index_base_S1_PS1_PS2_lSA_.has_indirect_call, 0
	.section	.AMDGPU.csdata,"",@progbits
; Kernel info:
; codeLenInByte = 1176
; TotalNumSgprs: 26
; NumVgprs: 22
; ScratchSize: 0
; MemoryBound: 0
; FloatMode: 240
; IeeeMode: 1
; LDSByteSize: 0 bytes/workgroup (compile time only)
; SGPRBlocks: 0
; VGPRBlocks: 1
; NumSGPRsForWavesPerEU: 26
; NumVGPRsForWavesPerEU: 22
; NamedBarCnt: 0
; Occupancy: 16
; WaveLimiterHint : 0
; COMPUTE_PGM_RSRC2:SCRATCH_EN: 0
; COMPUTE_PGM_RSRC2:USER_SGPR: 2
; COMPUTE_PGM_RSRC2:TRAP_HANDLER: 0
; COMPUTE_PGM_RSRC2:TGID_X_EN: 1
; COMPUTE_PGM_RSRC2:TGID_Y_EN: 1
; COMPUTE_PGM_RSRC2:TGID_Z_EN: 0
; COMPUTE_PGM_RSRC2:TIDIG_COMP_CNT: 0
	.section	.text._ZN9rocsparseL30csr2ell_strided_batched_kernelILj512EfliEEvT2_PKT0_lPKT1_PKS1_21rocsparse_index_base_S1_PS1_PS2_lSA_,"axG",@progbits,_ZN9rocsparseL30csr2ell_strided_batched_kernelILj512EfliEEvT2_PKT0_lPKT1_PKS1_21rocsparse_index_base_S1_PS1_PS2_lSA_,comdat
	.globl	_ZN9rocsparseL30csr2ell_strided_batched_kernelILj512EfliEEvT2_PKT0_lPKT1_PKS1_21rocsparse_index_base_S1_PS1_PS2_lSA_ ; -- Begin function _ZN9rocsparseL30csr2ell_strided_batched_kernelILj512EfliEEvT2_PKT0_lPKT1_PKS1_21rocsparse_index_base_S1_PS1_PS2_lSA_
	.p2align	8
	.type	_ZN9rocsparseL30csr2ell_strided_batched_kernelILj512EfliEEvT2_PKT0_lPKT1_PKS1_21rocsparse_index_base_S1_PS1_PS2_lSA_,@function
_ZN9rocsparseL30csr2ell_strided_batched_kernelILj512EfliEEvT2_PKT0_lPKT1_PKS1_21rocsparse_index_base_S1_PS1_PS2_lSA_: ; @_ZN9rocsparseL30csr2ell_strided_batched_kernelILj512EfliEEvT2_PKT0_lPKT1_PKS1_21rocsparse_index_base_S1_PS1_PS2_lSA_
; %bb.0:
	s_load_b32 s16, s[0:1], 0x0
	s_bfe_u32 s2, ttmp6, 0x4000c
	s_and_b32 s3, ttmp6, 15
	s_add_co_i32 s2, s2, 1
	s_delay_alu instid0(SALU_CYCLE_1)
	s_mul_i32 s4, ttmp9, s2
	s_getreg_b32 s2, hwreg(HW_REG_IB_STS2, 6, 4)
	s_add_co_i32 s3, s3, s4
	s_cmp_eq_u32 s2, 0
	s_mov_b32 s4, exec_lo
	s_cselect_b32 s3, ttmp9, s3
	s_delay_alu instid0(SALU_CYCLE_1) | instskip(SKIP_3) | instid1(VALU_DEP_1)
	s_lshl_b32 s17, s3, 9
	s_mov_b32 s3, 0
	v_or_b32_e32 v6, s17, v0
	s_wait_kmcnt 0x0
	v_cmpx_gt_i32_e64 s16, v6
	s_cbranch_execz .LBB5_22
; %bb.1:
	s_load_b256 s[4:11], s[0:1], 0x8
	v_ashrrev_i32_e32 v7, 31, v6
	s_mov_b32 s21, s3
	s_bfe_u32 s22, ttmp6, 0x40010
	s_bfe_u32 s23, ttmp6, 0x40004
	s_add_co_i32 s22, s22, 1
	s_delay_alu instid0(SALU_CYCLE_1) | instskip(NEXT) | instid1(SALU_CYCLE_1)
	s_mul_i32 s22, ttmp7, s22
	s_add_co_i32 s23, s23, s22
	s_cmp_eq_u32 s2, 0
	s_cselect_b32 s2, ttmp7, s23
	s_wait_kmcnt 0x0
	v_lshl_add_u64 v[2:3], v[6:7], 3, s[8:9]
	global_load_b128 v[2:5], v[2:3], off
	s_clause 0x2
	s_load_b64 s[8:9], s[0:1], 0x28
	s_load_b64 s[18:19], s[0:1], 0x40
	s_load_b128 s[12:15], s[0:1], 0x30
	s_wait_kmcnt 0x0
	s_mov_b32 s20, s8
	s_mul_u64 s[18:19], s[18:19], s[2:3]
	s_delay_alu instid0(SALU_CYCLE_1)
	s_lshl_b64 s[18:19], s[18:19], 2
	s_cmp_gt_i32 s9, 0
	s_add_nc_u64 s[14:15], s[14:15], s[18:19]
	s_wait_loadcnt 0x0
	v_sub_nc_u64_e64 v[8:9], v[2:3], s[20:21]
	v_sub_nc_u64_e64 v[10:11], v[4:5], s[20:21]
	s_cselect_b32 s20, -1, 0
	s_delay_alu instid0(VALU_DEP_2) | instskip(NEXT) | instid1(VALU_DEP_1)
	v_ashrrev_i32_e32 v9, 31, v8
	v_cmp_gt_i64_e32 vcc_lo, v[10:11], v[8:9]
	s_and_b32 s19, s20, vcc_lo
	s_delay_alu instid0(SALU_CYCLE_1)
	s_and_saveexec_b32 s18, s19
	s_cbranch_execz .LBB5_4
; %bb.2:
	s_load_b32 s19, s[0:1], 0x48
	v_subrev_nc_u32_e32 v1, s8, v2
	v_mov_b64_e32 v[14:15], v[8:9]
	s_wait_xcnt 0x0
	s_mul_u64 s[0:1], s[6:7], s[2:3]
	s_mov_b64 s[2:3], 0
	s_lshl_b64 s[0:1], s[0:1], 2
	v_dual_mov_b32 v1, v6 :: v_dual_add_nc_u32 v12, 1, v1
	v_mov_b32_e32 v3, v8
	s_add_nc_u64 s[0:1], s[4:5], s[0:1]
	s_mov_b32 s5, 0
	s_delay_alu instid0(VALU_DEP_2)
	v_ashrrev_i32_e32 v13, 31, v12
	s_wait_kmcnt 0x0
	s_sub_co_i32 s4, s19, s8
.LBB5_3:                                ; =>This Inner Loop Header: Depth=1
	v_lshlrev_b64_e32 v[14:15], 2, v[14:15]
	s_add_nc_u64 s[6:7], s[2:3], 1
	s_delay_alu instid0(SALU_CYCLE_1) | instskip(NEXT) | instid1(VALU_DEP_1)
	s_cmp_ge_i32 s6, s9
	v_add_nc_u64_e32 v[16:17], s[10:11], v[14:15]
	v_add_nc_u64_e32 v[14:15], s[0:1], v[14:15]
	global_load_b32 v5, v[16:17], off
	global_load_b32 v7, v[14:15], off
	s_wait_xcnt 0x1
	v_add_nc_u64_e32 v[16:17], s[2:3], v[12:13]
	s_wait_xcnt 0x0
	v_add_nc_u32_e32 v14, 1, v3
	s_cselect_b32 s2, -1, 0
	s_delay_alu instid0(VALU_DEP_2) | instskip(SKIP_1) | instid1(SALU_CYCLE_1)
	v_cmp_le_i64_e32 vcc_lo, v[10:11], v[16:17]
	s_or_b32 s2, vcc_lo, s2
	s_and_b32 s2, exec_lo, s2
	s_delay_alu instid0(SALU_CYCLE_1)
	s_or_b32 s5, s2, s5
	s_mov_b64 s[2:3], s[6:7]
	s_wait_loadcnt 0x1
	v_dual_add_nc_u32 v5, s4, v5 :: v_dual_ashrrev_i32 v15, 31, v14
	v_mov_b32_e32 v3, v14
	global_store_b32 v1, v5, s[12:13] scale_offset
	s_wait_loadcnt 0x0
	global_store_b32 v1, v7, s[14:15] scale_offset
	s_wait_xcnt 0x0
	v_add_nc_u32_e32 v1, s16, v1
	s_and_not1_b32 exec_lo, exec_lo, s5
	s_cbranch_execnz .LBB5_3
.LBB5_4:
	s_or_b32 exec_lo, exec_lo, s18
	v_sub_nc_u32_e32 v1, v10, v8
	s_delay_alu instid0(VALU_DEP_1)
	v_cmp_gt_i32_e32 vcc_lo, s9, v1
	s_and_b32 exec_lo, exec_lo, vcc_lo
	s_cbranch_execz .LBB5_22
; %bb.5:
	v_add_nc_u32_e32 v3, s9, v2
	s_mov_b32 s5, exec_lo
	s_delay_alu instid0(VALU_DEP_1) | instskip(NEXT) | instid1(VALU_DEP_1)
	v_sub_nc_u32_e32 v16, v3, v4
	v_cmp_gt_u32_e64 s4, 2, v16
	v_cmpx_lt_u32_e32 1, v16
	s_cbranch_execz .LBB5_19
; %bb.6:
	v_add_nc_u32_e32 v5, v6, v4
	v_not_b32_e32 v6, v4
	s_cmp_eq_u32 s16, 1
	s_cselect_b32 s0, -1, 0
	s_delay_alu instid0(VALU_DEP_2) | instskip(NEXT) | instid1(VALU_DEP_1)
	v_sub_nc_u32_e32 v14, v5, v2
	v_add3_u32 v3, v3, v6, v14
	s_delay_alu instid0(VALU_DEP_1)
	v_cmp_ge_i32_e32 vcc_lo, v3, v14
	s_and_b32 s1, s0, vcc_lo
	s_mov_b32 s0, -1
	s_and_saveexec_b32 s6, s1
	s_cbranch_execz .LBB5_18
; %bb.7:
	v_mov_b32_e32 v8, 0
	s_mov_b32 s2, -1
	s_mov_b32 s0, 0
	s_mov_b32 s7, exec_lo
                                        ; implicit-def: $vgpr5
	v_cmpx_lt_u32_e32 15, v16
	s_cbranch_execz .LBB5_13
; %bb.8:
	s_mov_b32 s20, -1
	v_and_b32_e32 v3, -16, v16
	s_mov_b32 s21, s20
	s_mov_b32 s2, s0
	;; [unrolled: 1-line block ×6, first 2 shown]
	v_mov_b64_e32 v[6:7], s[20:21]
	v_mov_b64_e32 v[12:13], s[2:3]
	;; [unrolled: 1-line block ×4, first 2 shown]
	v_mov_b32_e32 v5, v3
.LBB5_9:                                ; =>This Inner Loop Header: Depth=1
	s_delay_alu instid0(VALU_DEP_1) | instskip(NEXT) | instid1(VALU_DEP_1)
	v_dual_ashrrev_i32 v15, 31, v14 :: v_dual_add_nc_u32 v5, -16, v5
	v_lshlrev_b64_e32 v[18:19], 2, v[14:15]
	s_delay_alu instid0(VALU_DEP_2) | instskip(SKIP_2) | instid1(VALU_DEP_3)
	v_cmp_eq_u32_e32 vcc_lo, 0, v5
	v_add_nc_u32_e32 v14, 16, v14
	s_or_b32 s0, vcc_lo, s0
	v_add_nc_u64_e32 v[20:21], s[12:13], v[18:19]
	v_add_nc_u64_e32 v[18:19], s[14:15], v[18:19]
	s_clause 0x3
	global_store_b128 v[20:21], v[6:9], off
	global_store_b128 v[20:21], v[6:9], off offset:16
	global_store_b128 v[20:21], v[6:9], off offset:32
	;; [unrolled: 1-line block ×3, first 2 shown]
	s_clause 0x3
	global_store_b128 v[18:19], v[10:13], off
	global_store_b128 v[18:19], v[10:13], off offset:16
	global_store_b128 v[18:19], v[10:13], off offset:32
	global_store_b128 v[18:19], v[10:13], off offset:48
	s_wait_xcnt 0x0
	s_and_not1_b32 exec_lo, exec_lo, s0
	s_cbranch_execnz .LBB5_9
; %bb.10:
	s_or_b32 exec_lo, exec_lo, s0
	v_mov_b32_e32 v8, 0
	s_mov_b32 s2, 0
	s_mov_b32 s0, 0
	s_mov_b32 s1, exec_lo
                                        ; implicit-def: $vgpr5
	v_cmpx_ne_u32_e64 v16, v3
; %bb.11:
	v_dual_mov_b32 v8, v3 :: v_dual_bitop2_b32 v5, 14, v16 bitop3:0x40
	s_mov_b32 s0, exec_lo
	s_delay_alu instid0(VALU_DEP_1)
	v_cmp_ne_u32_e32 vcc_lo, 0, v5
	v_add_nc_u32_e32 v5, v3, v1
	s_and_b32 s2, vcc_lo, exec_lo
; %bb.12:
	s_or_b32 exec_lo, exec_lo, s1
	s_delay_alu instid0(SALU_CYCLE_1)
	s_and_b32 s0, s0, exec_lo
	s_or_not1_b32 s2, s2, exec_lo
.LBB5_13:
	s_or_b32 exec_lo, exec_lo, s7
	s_and_saveexec_b32 s1, s2
	s_cbranch_execz .LBB5_17
; %bb.14:
	v_add_nc_u32_e32 v3, v0, v8
	v_mov_b64_e32 v[6:7], 0
	s_mov_b32 s2, 0
	s_delay_alu instid0(VALU_DEP_2) | instskip(SKIP_2) | instid1(VALU_DEP_2)
	v_add3_u32 v3, v3, s17, v4
	v_and_b32_e32 v9, -2, v16
	v_mov_b64_e32 v[4:5], -1
	v_dual_sub_nc_u32 v2, v3, v2 :: v_dual_sub_nc_u32 v8, v8, v9
.LBB5_15:                               ; =>This Inner Loop Header: Depth=1
	s_delay_alu instid0(VALU_DEP_1) | instskip(NEXT) | instid1(VALU_DEP_1)
	v_dual_ashrrev_i32 v3, 31, v2 :: v_dual_add_nc_u32 v8, 2, v8
	v_lshlrev_b64_e32 v[10:11], 2, v[2:3]
	s_delay_alu instid0(VALU_DEP_2) | instskip(SKIP_2) | instid1(VALU_DEP_3)
	v_cmp_eq_u32_e32 vcc_lo, 0, v8
	v_add_nc_u32_e32 v2, 2, v2
	s_or_b32 s2, vcc_lo, s2
	v_add_nc_u64_e32 v[12:13], s[12:13], v[10:11]
	v_add_nc_u64_e32 v[10:11], s[14:15], v[10:11]
	global_store_b64 v[12:13], v[4:5], off
	global_store_b64 v[10:11], v[6:7], off
	s_wait_xcnt 0x0
	s_and_not1_b32 exec_lo, exec_lo, s2
	s_cbranch_execnz .LBB5_15
; %bb.16:
	s_or_b32 exec_lo, exec_lo, s2
	v_cmp_ne_u32_e32 vcc_lo, v16, v9
	v_add_nc_u32_e32 v5, v9, v1
	s_and_not1_b32 s0, s0, exec_lo
	s_and_b32 s2, vcc_lo, exec_lo
	s_delay_alu instid0(SALU_CYCLE_1)
	s_or_b32 s0, s0, s2
.LBB5_17:
	s_or_b32 exec_lo, exec_lo, s1
	v_mov_b32_e32 v1, v5
	s_or_not1_b32 s0, s0, exec_lo
.LBB5_18:
	s_or_b32 exec_lo, exec_lo, s6
	s_delay_alu instid0(SALU_CYCLE_1) | instskip(SKIP_1) | instid1(SALU_CYCLE_1)
	s_and_not1_b32 s1, s4, exec_lo
	s_and_b32 s0, s0, exec_lo
	s_or_b32 s4, s1, s0
.LBB5_19:
	s_or_b32 exec_lo, exec_lo, s5
	s_delay_alu instid0(SALU_CYCLE_1)
	s_and_b32 exec_lo, exec_lo, s4
	s_cbranch_execz .LBB5_22
; %bb.20:
	v_mul_lo_u32 v3, v1, s16
	v_mov_b32_e32 v2, -1
	s_mov_b32 s0, 0
	s_delay_alu instid0(VALU_DEP_2)
	v_add3_u32 v0, v0, v3, s17
	v_mov_b32_e32 v3, 0
.LBB5_21:                               ; =>This Inner Loop Header: Depth=1
	v_add_nc_u32_e32 v1, 1, v1
	s_clause 0x1
	global_store_b32 v0, v2, s[12:13] scale_offset
	global_store_b32 v0, v3, s[14:15] scale_offset
	s_wait_xcnt 0x0
	v_add_nc_u32_e32 v0, s16, v0
	v_cmp_le_i32_e32 vcc_lo, s9, v1
	s_or_b32 s0, vcc_lo, s0
	s_delay_alu instid0(SALU_CYCLE_1)
	s_and_not1_b32 exec_lo, exec_lo, s0
	s_cbranch_execnz .LBB5_21
.LBB5_22:
	s_endpgm
	.section	.rodata,"a",@progbits
	.p2align	6, 0x0
	.amdhsa_kernel _ZN9rocsparseL30csr2ell_strided_batched_kernelILj512EfliEEvT2_PKT0_lPKT1_PKS1_21rocsparse_index_base_S1_PS1_PS2_lSA_
		.amdhsa_group_segment_fixed_size 0
		.amdhsa_private_segment_fixed_size 0
		.amdhsa_kernarg_size 76
		.amdhsa_user_sgpr_count 2
		.amdhsa_user_sgpr_dispatch_ptr 0
		.amdhsa_user_sgpr_queue_ptr 0
		.amdhsa_user_sgpr_kernarg_segment_ptr 1
		.amdhsa_user_sgpr_dispatch_id 0
		.amdhsa_user_sgpr_kernarg_preload_length 0
		.amdhsa_user_sgpr_kernarg_preload_offset 0
		.amdhsa_user_sgpr_private_segment_size 0
		.amdhsa_wavefront_size32 1
		.amdhsa_uses_dynamic_stack 0
		.amdhsa_enable_private_segment 0
		.amdhsa_system_sgpr_workgroup_id_x 1
		.amdhsa_system_sgpr_workgroup_id_y 1
		.amdhsa_system_sgpr_workgroup_id_z 0
		.amdhsa_system_sgpr_workgroup_info 0
		.amdhsa_system_vgpr_workitem_id 0
		.amdhsa_next_free_vgpr 22
		.amdhsa_next_free_sgpr 24
		.amdhsa_named_barrier_count 0
		.amdhsa_reserve_vcc 1
		.amdhsa_float_round_mode_32 0
		.amdhsa_float_round_mode_16_64 0
		.amdhsa_float_denorm_mode_32 3
		.amdhsa_float_denorm_mode_16_64 3
		.amdhsa_fp16_overflow 0
		.amdhsa_memory_ordered 1
		.amdhsa_forward_progress 1
		.amdhsa_inst_pref_size 10
		.amdhsa_round_robin_scheduling 0
		.amdhsa_exception_fp_ieee_invalid_op 0
		.amdhsa_exception_fp_denorm_src 0
		.amdhsa_exception_fp_ieee_div_zero 0
		.amdhsa_exception_fp_ieee_overflow 0
		.amdhsa_exception_fp_ieee_underflow 0
		.amdhsa_exception_fp_ieee_inexact 0
		.amdhsa_exception_int_div_zero 0
	.end_amdhsa_kernel
	.section	.text._ZN9rocsparseL30csr2ell_strided_batched_kernelILj512EfliEEvT2_PKT0_lPKT1_PKS1_21rocsparse_index_base_S1_PS1_PS2_lSA_,"axG",@progbits,_ZN9rocsparseL30csr2ell_strided_batched_kernelILj512EfliEEvT2_PKT0_lPKT1_PKS1_21rocsparse_index_base_S1_PS1_PS2_lSA_,comdat
.Lfunc_end5:
	.size	_ZN9rocsparseL30csr2ell_strided_batched_kernelILj512EfliEEvT2_PKT0_lPKT1_PKS1_21rocsparse_index_base_S1_PS1_PS2_lSA_, .Lfunc_end5-_ZN9rocsparseL30csr2ell_strided_batched_kernelILj512EfliEEvT2_PKT0_lPKT1_PKS1_21rocsparse_index_base_S1_PS1_PS2_lSA_
                                        ; -- End function
	.set _ZN9rocsparseL30csr2ell_strided_batched_kernelILj512EfliEEvT2_PKT0_lPKT1_PKS1_21rocsparse_index_base_S1_PS1_PS2_lSA_.num_vgpr, 22
	.set _ZN9rocsparseL30csr2ell_strided_batched_kernelILj512EfliEEvT2_PKT0_lPKT1_PKS1_21rocsparse_index_base_S1_PS1_PS2_lSA_.num_agpr, 0
	.set _ZN9rocsparseL30csr2ell_strided_batched_kernelILj512EfliEEvT2_PKT0_lPKT1_PKS1_21rocsparse_index_base_S1_PS1_PS2_lSA_.numbered_sgpr, 24
	.set _ZN9rocsparseL30csr2ell_strided_batched_kernelILj512EfliEEvT2_PKT0_lPKT1_PKS1_21rocsparse_index_base_S1_PS1_PS2_lSA_.num_named_barrier, 0
	.set _ZN9rocsparseL30csr2ell_strided_batched_kernelILj512EfliEEvT2_PKT0_lPKT1_PKS1_21rocsparse_index_base_S1_PS1_PS2_lSA_.private_seg_size, 0
	.set _ZN9rocsparseL30csr2ell_strided_batched_kernelILj512EfliEEvT2_PKT0_lPKT1_PKS1_21rocsparse_index_base_S1_PS1_PS2_lSA_.uses_vcc, 1
	.set _ZN9rocsparseL30csr2ell_strided_batched_kernelILj512EfliEEvT2_PKT0_lPKT1_PKS1_21rocsparse_index_base_S1_PS1_PS2_lSA_.uses_flat_scratch, 0
	.set _ZN9rocsparseL30csr2ell_strided_batched_kernelILj512EfliEEvT2_PKT0_lPKT1_PKS1_21rocsparse_index_base_S1_PS1_PS2_lSA_.has_dyn_sized_stack, 0
	.set _ZN9rocsparseL30csr2ell_strided_batched_kernelILj512EfliEEvT2_PKT0_lPKT1_PKS1_21rocsparse_index_base_S1_PS1_PS2_lSA_.has_recursion, 0
	.set _ZN9rocsparseL30csr2ell_strided_batched_kernelILj512EfliEEvT2_PKT0_lPKT1_PKS1_21rocsparse_index_base_S1_PS1_PS2_lSA_.has_indirect_call, 0
	.section	.AMDGPU.csdata,"",@progbits
; Kernel info:
; codeLenInByte = 1232
; TotalNumSgprs: 26
; NumVgprs: 22
; ScratchSize: 0
; MemoryBound: 0
; FloatMode: 240
; IeeeMode: 1
; LDSByteSize: 0 bytes/workgroup (compile time only)
; SGPRBlocks: 0
; VGPRBlocks: 1
; NumSGPRsForWavesPerEU: 26
; NumVGPRsForWavesPerEU: 22
; NamedBarCnt: 0
; Occupancy: 16
; WaveLimiterHint : 0
; COMPUTE_PGM_RSRC2:SCRATCH_EN: 0
; COMPUTE_PGM_RSRC2:USER_SGPR: 2
; COMPUTE_PGM_RSRC2:TRAP_HANDLER: 0
; COMPUTE_PGM_RSRC2:TGID_X_EN: 1
; COMPUTE_PGM_RSRC2:TGID_Y_EN: 1
; COMPUTE_PGM_RSRC2:TGID_Z_EN: 0
; COMPUTE_PGM_RSRC2:TIDIG_COMP_CNT: 0
	.section	.text._ZN9rocsparseL30csr2ell_strided_batched_kernelILj512EfilEEvT2_PKT0_lPKT1_PKS1_21rocsparse_index_base_S1_PS1_PS2_lSA_,"axG",@progbits,_ZN9rocsparseL30csr2ell_strided_batched_kernelILj512EfilEEvT2_PKT0_lPKT1_PKS1_21rocsparse_index_base_S1_PS1_PS2_lSA_,comdat
	.globl	_ZN9rocsparseL30csr2ell_strided_batched_kernelILj512EfilEEvT2_PKT0_lPKT1_PKS1_21rocsparse_index_base_S1_PS1_PS2_lSA_ ; -- Begin function _ZN9rocsparseL30csr2ell_strided_batched_kernelILj512EfilEEvT2_PKT0_lPKT1_PKS1_21rocsparse_index_base_S1_PS1_PS2_lSA_
	.p2align	8
	.type	_ZN9rocsparseL30csr2ell_strided_batched_kernelILj512EfilEEvT2_PKT0_lPKT1_PKS1_21rocsparse_index_base_S1_PS1_PS2_lSA_,@function
_ZN9rocsparseL30csr2ell_strided_batched_kernelILj512EfilEEvT2_PKT0_lPKT1_PKS1_21rocsparse_index_base_S1_PS1_PS2_lSA_: ; @_ZN9rocsparseL30csr2ell_strided_batched_kernelILj512EfilEEvT2_PKT0_lPKT1_PKS1_21rocsparse_index_base_S1_PS1_PS2_lSA_
; %bb.0:
	s_load_b256 s[4:11], s[0:1], 0x0
	s_bfe_u32 s2, ttmp6, 0x4000c
	s_and_b32 s3, ttmp6, 15
	s_add_co_i32 s2, s2, 1
	s_mov_b32 s25, 0
	s_mul_i32 s12, ttmp9, s2
	s_getreg_b32 s2, hwreg(HW_REG_IB_STS2, 6, 4)
	s_add_co_i32 s3, s3, s12
	s_cmp_eq_u32 s2, 0
	v_mov_b32_e32 v3, 0
	s_cselect_b32 s3, ttmp9, s3
	s_delay_alu instid0(SALU_CYCLE_1) | instskip(SKIP_3) | instid1(VALU_DEP_1)
	s_lshl_b32 s23, s3, 9
	s_mov_b32 s3, exec_lo
	v_or_b32_e32 v2, s23, v0
	s_wait_kmcnt 0x0
	v_cmpx_gt_i64_e64 s[4:5], v[2:3]
	s_cbranch_execz .LBB6_7
; %bb.1:
	v_lshl_add_u64 v[4:5], v[2:3], 2, s[10:11]
	s_bfe_u32 s3, ttmp6, 0x40010
	s_bfe_u32 s5, ttmp6, 0x40004
	s_add_co_i32 s3, s3, 1
	s_delay_alu instid0(SALU_CYCLE_1)
	s_mul_i32 s3, ttmp7, s3
	global_load_b64 v[4:5], v[4:5], off
	s_clause 0x1
	s_load_b256 s[12:19], s[0:1], 0x30
	s_load_b96 s[20:22], s[0:1], 0x20
	s_add_co_i32 s5, s5, s3
	s_cmp_eq_u32 s2, 0
	s_cselect_b32 s24, ttmp7, s5
	s_wait_kmcnt 0x0
	v_cmp_gt_i64_e64 s5, s[12:13], 0
	s_mul_u64 s[2:3], s[18:19], s[24:25]
	s_delay_alu instid0(SALU_CYCLE_1) | instskip(NEXT) | instid1(SALU_CYCLE_1)
	s_lshl_b64 s[2:3], s[2:3], 2
	s_add_nc_u64 s[2:3], s[16:17], s[2:3]
	s_wait_loadcnt 0x0
	v_cmp_lt_i32_e32 vcc_lo, v4, v5
	v_subrev_nc_u32_e32 v4, s22, v4
	v_subrev_nc_u32_e32 v1, s22, v5
	s_and_b32 s10, s5, vcc_lo
	s_delay_alu instid0(SALU_CYCLE_1)
	s_and_saveexec_b32 s5, s10
	s_cbranch_execz .LBB6_4
; %bb.2:
	s_load_b32 s0, s[0:1], 0x50
	s_mul_u64 s[8:9], s[8:9], s[24:25]
	v_ashrrev_i32_e32 v5, 31, v4
	s_lshl_b64 s[8:9], s[8:9], 2
	s_wait_xcnt 0x0
	s_mov_b32 s1, 0
	s_add_nc_u64 s[6:7], s[6:7], s[8:9]
	s_mov_b32 s10, s22
	v_lshl_add_u64 v[6:7], v[4:5], 3, s[20:21]
	v_lshl_add_u64 v[8:9], v[4:5], 2, s[6:7]
	s_mov_b32 s11, s1
	s_mov_b64 s[8:9], 1
	s_wait_kmcnt 0x0
	s_sub_nc_u64 s[6:7], s[0:1], s[10:11]
.LBB6_3:                                ; =>This Inner Loop Header: Depth=1
	global_load_b64 v[10:11], v[6:7], off
	global_load_b32 v3, v[8:9], off
	v_add_nc_u32_e32 v5, s8, v4
	v_cmp_ge_i64_e64 s0, s[8:9], s[12:13]
	s_wait_xcnt 0x1
	v_add_nc_u64_e32 v[6:7], 8, v[6:7]
	s_wait_xcnt 0x0
	v_add_nc_u64_e32 v[8:9], 4, v[8:9]
	s_add_nc_u64 s[8:9], s[8:9], 1
	s_wait_loadcnt 0x1
	v_add_nc_u64_e32 v[10:11], s[6:7], v[10:11]
	global_store_b64 v2, v[10:11], s[14:15] scale_offset
	s_wait_loadcnt 0x0
	global_store_b32 v2, v3, s[2:3] scale_offset
	s_wait_xcnt 0x0
	v_add_nc_u32_e32 v2, s4, v2
	v_cmp_ge_i32_e32 vcc_lo, v5, v1
	s_or_b32 s0, vcc_lo, s0
	s_delay_alu instid0(SALU_CYCLE_1) | instskip(NEXT) | instid1(SALU_CYCLE_1)
	s_and_b32 s0, exec_lo, s0
	s_or_b32 s1, s0, s1
	s_delay_alu instid0(SALU_CYCLE_1)
	s_and_not1_b32 exec_lo, exec_lo, s1
	s_cbranch_execnz .LBB6_3
.LBB6_4:
	s_or_b32 exec_lo, exec_lo, s5
	v_sub_nc_u32_e32 v2, v1, v4
	s_delay_alu instid0(VALU_DEP_1) | instskip(NEXT) | instid1(VALU_DEP_1)
	v_ashrrev_i32_e32 v3, 31, v2
	v_cmp_gt_i64_e32 vcc_lo, s[12:13], v[2:3]
	s_and_b32 exec_lo, exec_lo, vcc_lo
	s_cbranch_execz .LBB6_7
; %bb.5:
	v_mul_lo_u32 v1, v2, s4
	v_mov_b64_e32 v[4:5], -1
	s_mov_b32 s0, 0
	s_delay_alu instid0(VALU_DEP_2)
	v_add3_u32 v0, v0, v1, s23
	v_mov_b32_e32 v1, 0
.LBB6_6:                                ; =>This Inner Loop Header: Depth=1
	v_add_nc_u64_e32 v[2:3], 1, v[2:3]
	s_clause 0x1
	global_store_b64 v0, v[4:5], s[14:15] scale_offset
	global_store_b32 v0, v1, s[2:3] scale_offset
	s_wait_xcnt 0x0
	v_add_nc_u32_e32 v0, s4, v0
	v_cmp_le_i64_e32 vcc_lo, s[12:13], v[2:3]
	s_or_b32 s0, vcc_lo, s0
	s_delay_alu instid0(SALU_CYCLE_1)
	s_and_not1_b32 exec_lo, exec_lo, s0
	s_cbranch_execnz .LBB6_6
.LBB6_7:
	s_endpgm
	.section	.rodata,"a",@progbits
	.p2align	6, 0x0
	.amdhsa_kernel _ZN9rocsparseL30csr2ell_strided_batched_kernelILj512EfilEEvT2_PKT0_lPKT1_PKS1_21rocsparse_index_base_S1_PS1_PS2_lSA_
		.amdhsa_group_segment_fixed_size 0
		.amdhsa_private_segment_fixed_size 0
		.amdhsa_kernarg_size 84
		.amdhsa_user_sgpr_count 2
		.amdhsa_user_sgpr_dispatch_ptr 0
		.amdhsa_user_sgpr_queue_ptr 0
		.amdhsa_user_sgpr_kernarg_segment_ptr 1
		.amdhsa_user_sgpr_dispatch_id 0
		.amdhsa_user_sgpr_kernarg_preload_length 0
		.amdhsa_user_sgpr_kernarg_preload_offset 0
		.amdhsa_user_sgpr_private_segment_size 0
		.amdhsa_wavefront_size32 1
		.amdhsa_uses_dynamic_stack 0
		.amdhsa_enable_private_segment 0
		.amdhsa_system_sgpr_workgroup_id_x 1
		.amdhsa_system_sgpr_workgroup_id_y 1
		.amdhsa_system_sgpr_workgroup_id_z 0
		.amdhsa_system_sgpr_workgroup_info 0
		.amdhsa_system_vgpr_workitem_id 0
		.amdhsa_next_free_vgpr 12
		.amdhsa_next_free_sgpr 26
		.amdhsa_named_barrier_count 0
		.amdhsa_reserve_vcc 1
		.amdhsa_float_round_mode_32 0
		.amdhsa_float_round_mode_16_64 0
		.amdhsa_float_denorm_mode_32 3
		.amdhsa_float_denorm_mode_16_64 3
		.amdhsa_fp16_overflow 0
		.amdhsa_memory_ordered 1
		.amdhsa_forward_progress 1
		.amdhsa_inst_pref_size 5
		.amdhsa_round_robin_scheduling 0
		.amdhsa_exception_fp_ieee_invalid_op 0
		.amdhsa_exception_fp_denorm_src 0
		.amdhsa_exception_fp_ieee_div_zero 0
		.amdhsa_exception_fp_ieee_overflow 0
		.amdhsa_exception_fp_ieee_underflow 0
		.amdhsa_exception_fp_ieee_inexact 0
		.amdhsa_exception_int_div_zero 0
	.end_amdhsa_kernel
	.section	.text._ZN9rocsparseL30csr2ell_strided_batched_kernelILj512EfilEEvT2_PKT0_lPKT1_PKS1_21rocsparse_index_base_S1_PS1_PS2_lSA_,"axG",@progbits,_ZN9rocsparseL30csr2ell_strided_batched_kernelILj512EfilEEvT2_PKT0_lPKT1_PKS1_21rocsparse_index_base_S1_PS1_PS2_lSA_,comdat
.Lfunc_end6:
	.size	_ZN9rocsparseL30csr2ell_strided_batched_kernelILj512EfilEEvT2_PKT0_lPKT1_PKS1_21rocsparse_index_base_S1_PS1_PS2_lSA_, .Lfunc_end6-_ZN9rocsparseL30csr2ell_strided_batched_kernelILj512EfilEEvT2_PKT0_lPKT1_PKS1_21rocsparse_index_base_S1_PS1_PS2_lSA_
                                        ; -- End function
	.set _ZN9rocsparseL30csr2ell_strided_batched_kernelILj512EfilEEvT2_PKT0_lPKT1_PKS1_21rocsparse_index_base_S1_PS1_PS2_lSA_.num_vgpr, 12
	.set _ZN9rocsparseL30csr2ell_strided_batched_kernelILj512EfilEEvT2_PKT0_lPKT1_PKS1_21rocsparse_index_base_S1_PS1_PS2_lSA_.num_agpr, 0
	.set _ZN9rocsparseL30csr2ell_strided_batched_kernelILj512EfilEEvT2_PKT0_lPKT1_PKS1_21rocsparse_index_base_S1_PS1_PS2_lSA_.numbered_sgpr, 26
	.set _ZN9rocsparseL30csr2ell_strided_batched_kernelILj512EfilEEvT2_PKT0_lPKT1_PKS1_21rocsparse_index_base_S1_PS1_PS2_lSA_.num_named_barrier, 0
	.set _ZN9rocsparseL30csr2ell_strided_batched_kernelILj512EfilEEvT2_PKT0_lPKT1_PKS1_21rocsparse_index_base_S1_PS1_PS2_lSA_.private_seg_size, 0
	.set _ZN9rocsparseL30csr2ell_strided_batched_kernelILj512EfilEEvT2_PKT0_lPKT1_PKS1_21rocsparse_index_base_S1_PS1_PS2_lSA_.uses_vcc, 1
	.set _ZN9rocsparseL30csr2ell_strided_batched_kernelILj512EfilEEvT2_PKT0_lPKT1_PKS1_21rocsparse_index_base_S1_PS1_PS2_lSA_.uses_flat_scratch, 0
	.set _ZN9rocsparseL30csr2ell_strided_batched_kernelILj512EfilEEvT2_PKT0_lPKT1_PKS1_21rocsparse_index_base_S1_PS1_PS2_lSA_.has_dyn_sized_stack, 0
	.set _ZN9rocsparseL30csr2ell_strided_batched_kernelILj512EfilEEvT2_PKT0_lPKT1_PKS1_21rocsparse_index_base_S1_PS1_PS2_lSA_.has_recursion, 0
	.set _ZN9rocsparseL30csr2ell_strided_batched_kernelILj512EfilEEvT2_PKT0_lPKT1_PKS1_21rocsparse_index_base_S1_PS1_PS2_lSA_.has_indirect_call, 0
	.section	.AMDGPU.csdata,"",@progbits
; Kernel info:
; codeLenInByte = 548
; TotalNumSgprs: 28
; NumVgprs: 12
; ScratchSize: 0
; MemoryBound: 0
; FloatMode: 240
; IeeeMode: 1
; LDSByteSize: 0 bytes/workgroup (compile time only)
; SGPRBlocks: 0
; VGPRBlocks: 0
; NumSGPRsForWavesPerEU: 28
; NumVGPRsForWavesPerEU: 12
; NamedBarCnt: 0
; Occupancy: 16
; WaveLimiterHint : 0
; COMPUTE_PGM_RSRC2:SCRATCH_EN: 0
; COMPUTE_PGM_RSRC2:USER_SGPR: 2
; COMPUTE_PGM_RSRC2:TRAP_HANDLER: 0
; COMPUTE_PGM_RSRC2:TGID_X_EN: 1
; COMPUTE_PGM_RSRC2:TGID_Y_EN: 1
; COMPUTE_PGM_RSRC2:TGID_Z_EN: 0
; COMPUTE_PGM_RSRC2:TIDIG_COMP_CNT: 0
	.section	.text._ZN9rocsparseL30csr2ell_strided_batched_kernelILj512EfllEEvT2_PKT0_lPKT1_PKS1_21rocsparse_index_base_S1_PS1_PS2_lSA_,"axG",@progbits,_ZN9rocsparseL30csr2ell_strided_batched_kernelILj512EfllEEvT2_PKT0_lPKT1_PKS1_21rocsparse_index_base_S1_PS1_PS2_lSA_,comdat
	.globl	_ZN9rocsparseL30csr2ell_strided_batched_kernelILj512EfllEEvT2_PKT0_lPKT1_PKS1_21rocsparse_index_base_S1_PS1_PS2_lSA_ ; -- Begin function _ZN9rocsparseL30csr2ell_strided_batched_kernelILj512EfllEEvT2_PKT0_lPKT1_PKS1_21rocsparse_index_base_S1_PS1_PS2_lSA_
	.p2align	8
	.type	_ZN9rocsparseL30csr2ell_strided_batched_kernelILj512EfllEEvT2_PKT0_lPKT1_PKS1_21rocsparse_index_base_S1_PS1_PS2_lSA_,@function
_ZN9rocsparseL30csr2ell_strided_batched_kernelILj512EfllEEvT2_PKT0_lPKT1_PKS1_21rocsparse_index_base_S1_PS1_PS2_lSA_: ; @_ZN9rocsparseL30csr2ell_strided_batched_kernelILj512EfllEEvT2_PKT0_lPKT1_PKS1_21rocsparse_index_base_S1_PS1_PS2_lSA_
; %bb.0:
	s_load_b256 s[4:11], s[0:1], 0x0
	s_bfe_u32 s2, ttmp6, 0x4000c
	s_and_b32 s3, ttmp6, 15
	s_add_co_i32 s2, s2, 1
	v_mov_b32_e32 v5, 0
	s_mul_i32 s12, ttmp9, s2
	s_getreg_b32 s2, hwreg(HW_REG_IB_STS2, 6, 4)
	s_add_co_i32 s3, s3, s12
	s_cmp_eq_u32 s2, 0
	s_mov_b32 s25, 0
	s_cselect_b32 s3, ttmp9, s3
	s_delay_alu instid0(SALU_CYCLE_1) | instskip(SKIP_2) | instid1(VALU_DEP_1)
	v_lshl_or_b32 v4, s3, 9, v0
	s_mov_b32 s3, exec_lo
	s_wait_kmcnt 0x0
	v_cmpx_gt_i64_e64 s[4:5], v[4:5]
	s_cbranch_execz .LBB7_7
; %bb.1:
	v_lshl_add_u64 v[0:1], v[4:5], 3, s[10:11]
	s_mov_b32 s11, s25
	s_bfe_u32 s3, ttmp6, 0x40010
	s_bfe_u32 s23, ttmp6, 0x40004
	s_add_co_i32 s3, s3, 1
	global_load_b128 v[0:3], v[0:1], off
	s_clause 0x1
	s_load_b96 s[20:22], s[0:1], 0x20
	s_load_b256 s[12:19], s[0:1], 0x30
	s_mul_i32 s3, ttmp7, s3
	s_delay_alu instid0(SALU_CYCLE_1)
	s_add_co_i32 s23, s23, s3
	s_cmp_eq_u32 s2, 0
	s_cselect_b32 s24, ttmp7, s23
	s_wait_kmcnt 0x0
	s_mov_b32 s10, s22
	v_cmp_gt_i64_e64 s26, s[12:13], 0
	s_mul_u64 s[2:3], s[18:19], s[24:25]
	s_wait_loadcnt 0x0
	v_sub_nc_u64_e64 v[6:7], v[0:1], s[10:11]
	v_sub_nc_u64_e64 v[2:3], v[2:3], s[10:11]
	s_delay_alu instid0(VALU_DEP_2) | instskip(NEXT) | instid1(VALU_DEP_1)
	v_dual_mov_b32 v8, v6 :: v_dual_ashrrev_i32 v9, 31, v6
	v_cmp_gt_i64_e32 vcc_lo, v[2:3], v[8:9]
	s_and_b32 s18, s26, vcc_lo
	s_delay_alu instid0(SALU_CYCLE_1)
	s_and_saveexec_b32 s23, s18
	s_cbranch_execz .LBB7_4
; %bb.2:
	s_load_b32 s0, s[0:1], 0x50
	v_subrev_nc_u32_e32 v0, s22, v0
	s_mul_u64 s[8:9], s[8:9], s[24:25]
	s_wait_xcnt 0x0
	s_mov_b32 s1, 0
	s_lshl_b64 s[18:19], s[2:3], 2
	v_dual_mov_b32 v10, v4 :: v_dual_add_nc_u32 v0, 1, v0
	v_mov_b32_e32 v11, v6
	s_lshl_b64 s[24:25], s[8:9], 2
	s_add_nc_u64 s[8:9], s[16:17], s[18:19]
	s_add_nc_u64 s[6:7], s[6:7], s[24:25]
	v_ashrrev_i32_e32 v1, 31, v0
	s_mov_b64 s[18:19], 1
	s_wait_kmcnt 0x0
	s_sub_nc_u64 s[10:11], s[0:1], s[10:11]
.LBB7_3:                                ; =>This Inner Loop Header: Depth=1
	s_delay_alu instid0(VALU_DEP_2)
	v_lshl_add_u64 v[12:13], v[8:9], 3, s[20:21]
	v_lshl_add_u64 v[8:9], v[8:9], 2, s[6:7]
	v_cmp_ge_i64_e64 s0, s[18:19], s[12:13]
	global_load_b64 v[12:13], v[12:13], off
	global_load_b32 v16, v[8:9], off
	s_wait_xcnt 0x0
	v_add_nc_u64_e32 v[8:9], s[18:19], v[0:1]
	s_add_nc_u64 s[18:19], s[18:19], 1
	s_delay_alu instid0(VALU_DEP_1) | instskip(SKIP_1) | instid1(VALU_DEP_2)
	v_add_nc_u64_e32 v[14:15], -1, v[8:9]
	v_add_nc_u32_e32 v8, 1, v11
	v_cmp_le_i64_e32 vcc_lo, v[2:3], v[14:15]
	s_or_b32 s0, vcc_lo, s0
	s_delay_alu instid0(SALU_CYCLE_1) | instskip(NEXT) | instid1(SALU_CYCLE_1)
	s_and_b32 s0, exec_lo, s0
	s_or_b32 s1, s0, s1
	s_wait_loadcnt 0x1
	v_add_nc_u64_e32 v[12:13], s[10:11], v[12:13]
	global_store_b64 v10, v[12:13], s[14:15] scale_offset
	s_wait_loadcnt 0x0
	global_store_b32 v10, v16, s[8:9] scale_offset
	s_wait_xcnt 0x0
	v_dual_add_nc_u32 v10, s4, v10 :: v_dual_ashrrev_i32 v9, 31, v8
	v_mov_b32_e32 v11, v8
	s_and_not1_b32 exec_lo, exec_lo, s1
	s_cbranch_execnz .LBB7_3
.LBB7_4:
	s_or_b32 exec_lo, exec_lo, s23
	v_sub_nc_u64_e32 v[0:1], v[2:3], v[6:7]
	s_delay_alu instid0(VALU_DEP_1)
	v_cmp_gt_i64_e32 vcc_lo, s[12:13], v[0:1]
	s_and_b32 exec_lo, exec_lo, vcc_lo
	s_cbranch_execz .LBB7_7
; %bb.5:
	v_mul_u64_e32 v[2:3], s[4:5], v[0:1]
	v_lshlrev_b64_e32 v[6:7], 3, v[4:5]
	s_lshl_b64 s[0:1], s[2:3], 2
	s_lshl_b64 s[2:3], s[4:5], 2
	s_delay_alu instid0(VALU_DEP_2) | instskip(NEXT) | instid1(VALU_DEP_2)
	v_lshl_add_u64 v[8:9], v[2:3], 2, s[0:1]
	v_lshl_add_u64 v[2:3], v[2:3], 3, v[6:7]
	v_mov_b64_e32 v[6:7], -1
	s_lshl_b64 s[0:1], s[4:5], 3
	s_mov_b32 s4, 0
	v_lshl_add_u64 v[4:5], v[4:5], 2, v[8:9]
	v_add_nc_u64_e32 v[2:3], s[14:15], v[2:3]
	v_mov_b32_e32 v8, 0
	s_delay_alu instid0(VALU_DEP_3)
	v_add_nc_u64_e32 v[4:5], s[16:17], v[4:5]
.LBB7_6:                                ; =>This Inner Loop Header: Depth=1
	v_add_nc_u64_e32 v[0:1], 1, v[0:1]
	global_store_b64 v[2:3], v[6:7], off
	global_store_b32 v[4:5], v8, off
	s_wait_xcnt 0x1
	v_add_nc_u64_e32 v[2:3], s[0:1], v[2:3]
	s_wait_xcnt 0x0
	v_add_nc_u64_e32 v[4:5], s[2:3], v[4:5]
	v_cmp_le_i64_e32 vcc_lo, s[12:13], v[0:1]
	s_or_b32 s4, vcc_lo, s4
	s_delay_alu instid0(SALU_CYCLE_1)
	s_and_not1_b32 exec_lo, exec_lo, s4
	s_cbranch_execnz .LBB7_6
.LBB7_7:
	s_endpgm
	.section	.rodata,"a",@progbits
	.p2align	6, 0x0
	.amdhsa_kernel _ZN9rocsparseL30csr2ell_strided_batched_kernelILj512EfllEEvT2_PKT0_lPKT1_PKS1_21rocsparse_index_base_S1_PS1_PS2_lSA_
		.amdhsa_group_segment_fixed_size 0
		.amdhsa_private_segment_fixed_size 0
		.amdhsa_kernarg_size 84
		.amdhsa_user_sgpr_count 2
		.amdhsa_user_sgpr_dispatch_ptr 0
		.amdhsa_user_sgpr_queue_ptr 0
		.amdhsa_user_sgpr_kernarg_segment_ptr 1
		.amdhsa_user_sgpr_dispatch_id 0
		.amdhsa_user_sgpr_kernarg_preload_length 0
		.amdhsa_user_sgpr_kernarg_preload_offset 0
		.amdhsa_user_sgpr_private_segment_size 0
		.amdhsa_wavefront_size32 1
		.amdhsa_uses_dynamic_stack 0
		.amdhsa_enable_private_segment 0
		.amdhsa_system_sgpr_workgroup_id_x 1
		.amdhsa_system_sgpr_workgroup_id_y 1
		.amdhsa_system_sgpr_workgroup_id_z 0
		.amdhsa_system_sgpr_workgroup_info 0
		.amdhsa_system_vgpr_workitem_id 0
		.amdhsa_next_free_vgpr 17
		.amdhsa_next_free_sgpr 27
		.amdhsa_named_barrier_count 0
		.amdhsa_reserve_vcc 1
		.amdhsa_float_round_mode_32 0
		.amdhsa_float_round_mode_16_64 0
		.amdhsa_float_denorm_mode_32 3
		.amdhsa_float_denorm_mode_16_64 3
		.amdhsa_fp16_overflow 0
		.amdhsa_memory_ordered 1
		.amdhsa_forward_progress 1
		.amdhsa_inst_pref_size 5
		.amdhsa_round_robin_scheduling 0
		.amdhsa_exception_fp_ieee_invalid_op 0
		.amdhsa_exception_fp_denorm_src 0
		.amdhsa_exception_fp_ieee_div_zero 0
		.amdhsa_exception_fp_ieee_overflow 0
		.amdhsa_exception_fp_ieee_underflow 0
		.amdhsa_exception_fp_ieee_inexact 0
		.amdhsa_exception_int_div_zero 0
	.end_amdhsa_kernel
	.section	.text._ZN9rocsparseL30csr2ell_strided_batched_kernelILj512EfllEEvT2_PKT0_lPKT1_PKS1_21rocsparse_index_base_S1_PS1_PS2_lSA_,"axG",@progbits,_ZN9rocsparseL30csr2ell_strided_batched_kernelILj512EfllEEvT2_PKT0_lPKT1_PKS1_21rocsparse_index_base_S1_PS1_PS2_lSA_,comdat
.Lfunc_end7:
	.size	_ZN9rocsparseL30csr2ell_strided_batched_kernelILj512EfllEEvT2_PKT0_lPKT1_PKS1_21rocsparse_index_base_S1_PS1_PS2_lSA_, .Lfunc_end7-_ZN9rocsparseL30csr2ell_strided_batched_kernelILj512EfllEEvT2_PKT0_lPKT1_PKS1_21rocsparse_index_base_S1_PS1_PS2_lSA_
                                        ; -- End function
	.set _ZN9rocsparseL30csr2ell_strided_batched_kernelILj512EfllEEvT2_PKT0_lPKT1_PKS1_21rocsparse_index_base_S1_PS1_PS2_lSA_.num_vgpr, 17
	.set _ZN9rocsparseL30csr2ell_strided_batched_kernelILj512EfllEEvT2_PKT0_lPKT1_PKS1_21rocsparse_index_base_S1_PS1_PS2_lSA_.num_agpr, 0
	.set _ZN9rocsparseL30csr2ell_strided_batched_kernelILj512EfllEEvT2_PKT0_lPKT1_PKS1_21rocsparse_index_base_S1_PS1_PS2_lSA_.numbered_sgpr, 27
	.set _ZN9rocsparseL30csr2ell_strided_batched_kernelILj512EfllEEvT2_PKT0_lPKT1_PKS1_21rocsparse_index_base_S1_PS1_PS2_lSA_.num_named_barrier, 0
	.set _ZN9rocsparseL30csr2ell_strided_batched_kernelILj512EfllEEvT2_PKT0_lPKT1_PKS1_21rocsparse_index_base_S1_PS1_PS2_lSA_.private_seg_size, 0
	.set _ZN9rocsparseL30csr2ell_strided_batched_kernelILj512EfllEEvT2_PKT0_lPKT1_PKS1_21rocsparse_index_base_S1_PS1_PS2_lSA_.uses_vcc, 1
	.set _ZN9rocsparseL30csr2ell_strided_batched_kernelILj512EfllEEvT2_PKT0_lPKT1_PKS1_21rocsparse_index_base_S1_PS1_PS2_lSA_.uses_flat_scratch, 0
	.set _ZN9rocsparseL30csr2ell_strided_batched_kernelILj512EfllEEvT2_PKT0_lPKT1_PKS1_21rocsparse_index_base_S1_PS1_PS2_lSA_.has_dyn_sized_stack, 0
	.set _ZN9rocsparseL30csr2ell_strided_batched_kernelILj512EfllEEvT2_PKT0_lPKT1_PKS1_21rocsparse_index_base_S1_PS1_PS2_lSA_.has_recursion, 0
	.set _ZN9rocsparseL30csr2ell_strided_batched_kernelILj512EfllEEvT2_PKT0_lPKT1_PKS1_21rocsparse_index_base_S1_PS1_PS2_lSA_.has_indirect_call, 0
	.section	.AMDGPU.csdata,"",@progbits
; Kernel info:
; codeLenInByte = 636
; TotalNumSgprs: 29
; NumVgprs: 17
; ScratchSize: 0
; MemoryBound: 0
; FloatMode: 240
; IeeeMode: 1
; LDSByteSize: 0 bytes/workgroup (compile time only)
; SGPRBlocks: 0
; VGPRBlocks: 1
; NumSGPRsForWavesPerEU: 29
; NumVGPRsForWavesPerEU: 17
; NamedBarCnt: 0
; Occupancy: 16
; WaveLimiterHint : 0
; COMPUTE_PGM_RSRC2:SCRATCH_EN: 0
; COMPUTE_PGM_RSRC2:USER_SGPR: 2
; COMPUTE_PGM_RSRC2:TRAP_HANDLER: 0
; COMPUTE_PGM_RSRC2:TGID_X_EN: 1
; COMPUTE_PGM_RSRC2:TGID_Y_EN: 1
; COMPUTE_PGM_RSRC2:TGID_Z_EN: 0
; COMPUTE_PGM_RSRC2:TIDIG_COMP_CNT: 0
	.section	.text._ZN9rocsparseL30csr2ell_strided_batched_kernelILj512EdiiEEvT2_PKT0_lPKT1_PKS1_21rocsparse_index_base_S1_PS1_PS2_lSA_,"axG",@progbits,_ZN9rocsparseL30csr2ell_strided_batched_kernelILj512EdiiEEvT2_PKT0_lPKT1_PKS1_21rocsparse_index_base_S1_PS1_PS2_lSA_,comdat
	.globl	_ZN9rocsparseL30csr2ell_strided_batched_kernelILj512EdiiEEvT2_PKT0_lPKT1_PKS1_21rocsparse_index_base_S1_PS1_PS2_lSA_ ; -- Begin function _ZN9rocsparseL30csr2ell_strided_batched_kernelILj512EdiiEEvT2_PKT0_lPKT1_PKS1_21rocsparse_index_base_S1_PS1_PS2_lSA_
	.p2align	8
	.type	_ZN9rocsparseL30csr2ell_strided_batched_kernelILj512EdiiEEvT2_PKT0_lPKT1_PKS1_21rocsparse_index_base_S1_PS1_PS2_lSA_,@function
_ZN9rocsparseL30csr2ell_strided_batched_kernelILj512EdiiEEvT2_PKT0_lPKT1_PKS1_21rocsparse_index_base_S1_PS1_PS2_lSA_: ; @_ZN9rocsparseL30csr2ell_strided_batched_kernelILj512EdiiEEvT2_PKT0_lPKT1_PKS1_21rocsparse_index_base_S1_PS1_PS2_lSA_
; %bb.0:
	s_load_b32 s18, s[0:1], 0x0
	s_bfe_u32 s2, ttmp6, 0x4000c
	s_and_b32 s3, ttmp6, 15
	s_add_co_i32 s2, s2, 1
	s_getreg_b32 s16, hwreg(HW_REG_IB_STS2, 6, 4)
	s_mul_i32 s2, ttmp9, s2
	s_mov_b32 s17, 0
	s_add_co_i32 s3, s3, s2
	s_cmp_eq_u32 s16, 0
	s_cselect_b32 s2, ttmp9, s3
	s_delay_alu instid0(SALU_CYCLE_1) | instskip(SKIP_3) | instid1(VALU_DEP_1)
	s_lshl_b32 s19, s2, 9
	s_mov_b32 s2, exec_lo
	v_or_b32_e32 v2, s19, v0
	s_wait_kmcnt 0x0
	v_cmpx_gt_i32_e64 s18, v2
	s_cbranch_execz .LBB8_7
; %bb.1:
	s_load_b256 s[4:11], s[0:1], 0x8
	v_ashrrev_i32_e32 v3, 31, v2
	s_bfe_u32 s20, ttmp6, 0x40010
	s_bfe_u32 s21, ttmp6, 0x40004
	s_add_co_i32 s20, s20, 1
	s_delay_alu instid0(SALU_CYCLE_1) | instskip(NEXT) | instid1(SALU_CYCLE_1)
	s_mul_i32 s20, ttmp7, s20
	s_add_co_i32 s21, s21, s20
	s_cmp_eq_u32 s16, 0
	s_cselect_b32 s16, ttmp7, s21
	s_wait_kmcnt 0x0
	v_lshl_add_u64 v[4:5], v[2:3], 2, s[8:9]
	global_load_b64 v[6:7], v[4:5], off
	s_clause 0x2
	s_load_b64 s[8:9], s[0:1], 0x40
	s_load_b64 s[2:3], s[0:1], 0x28
	s_load_b128 s[12:15], s[0:1], 0x30
	s_wait_kmcnt 0x0
	s_mul_u64 s[8:9], s[8:9], s[16:17]
	s_delay_alu instid0(SALU_CYCLE_1)
	s_lshl_b64 s[8:9], s[8:9], 3
	s_cmp_gt_i32 s3, 0
	s_add_nc_u64 s[8:9], s[14:15], s[8:9]
	s_cselect_b32 s20, -1, 0
	s_wait_loadcnt 0x0
	v_cmp_lt_i32_e32 vcc_lo, v6, v7
	v_subrev_nc_u32_e32 v4, s2, v6
	v_subrev_nc_u32_e32 v1, s2, v7
	s_and_b32 s15, s20, vcc_lo
	s_delay_alu instid0(SALU_CYCLE_1)
	s_and_saveexec_b32 s14, s15
	s_cbranch_execz .LBB8_4
; %bb.2:
	s_load_b32 s15, s[0:1], 0x48
	s_wait_xcnt 0x0
	s_mul_u64 s[0:1], s[6:7], s[16:17]
	v_ashrrev_i32_e32 v5, 31, v4
	s_lshl_b64 s[0:1], s[0:1], 3
	s_delay_alu instid0(SALU_CYCLE_1) | instskip(NEXT) | instid1(VALU_DEP_1)
	s_add_nc_u64 s[0:1], s[4:5], s[0:1]
	v_lshl_add_u64 v[6:7], v[4:5], 2, s[10:11]
	v_lshl_add_u64 v[8:9], v[4:5], 3, s[0:1]
	s_mov_b32 s0, 1
	s_wait_kmcnt 0x0
	s_sub_co_i32 s1, s15, s2
	s_mov_b32 s2, 0
.LBB8_3:                                ; =>This Inner Loop Header: Depth=1
	global_load_b32 v3, v[6:7], off
	global_load_b64 v[10:11], v[8:9], off
	v_add_nc_u32_e32 v5, s0, v4
	s_cmp_ge_i32 s0, s3
	s_wait_xcnt 0x1
	v_add_nc_u64_e32 v[6:7], 4, v[6:7]
	s_cselect_b32 s4, -1, 0
	s_wait_xcnt 0x0
	v_add_nc_u64_e32 v[8:9], 8, v[8:9]
	s_add_co_i32 s0, s0, 1
	s_wait_loadcnt 0x1
	v_add_nc_u32_e32 v3, s1, v3
	v_cmp_ge_i32_e32 vcc_lo, v5, v1
	global_store_b32 v2, v3, s[12:13] scale_offset
	s_wait_loadcnt 0x0
	global_store_b64 v2, v[10:11], s[8:9] scale_offset
	s_or_b32 s4, vcc_lo, s4
	s_wait_xcnt 0x0
	v_add_nc_u32_e32 v2, s18, v2
	s_and_b32 s4, exec_lo, s4
	s_delay_alu instid0(SALU_CYCLE_1) | instskip(NEXT) | instid1(SALU_CYCLE_1)
	s_or_b32 s2, s4, s2
	s_and_not1_b32 exec_lo, exec_lo, s2
	s_cbranch_execnz .LBB8_3
.LBB8_4:
	s_or_b32 exec_lo, exec_lo, s14
	v_sub_nc_u32_e32 v1, v1, v4
	s_delay_alu instid0(VALU_DEP_1)
	v_cmp_gt_i32_e32 vcc_lo, s3, v1
	s_and_b32 exec_lo, exec_lo, vcc_lo
	s_cbranch_execz .LBB8_7
; %bb.5:
	v_mul_lo_u32 v4, s18, v1
	v_mov_b64_e32 v[2:3], 0
	s_mov_b32 s0, 0
	s_delay_alu instid0(VALU_DEP_2)
	v_add3_u32 v0, v0, v4, s19
	v_mov_b32_e32 v4, -1
.LBB8_6:                                ; =>This Inner Loop Header: Depth=1
	v_add_nc_u32_e32 v1, 1, v1
	s_clause 0x1
	global_store_b32 v0, v4, s[12:13] scale_offset
	global_store_b64 v0, v[2:3], s[8:9] scale_offset
	s_wait_xcnt 0x0
	v_add_nc_u32_e32 v0, s18, v0
	v_cmp_le_i32_e32 vcc_lo, s3, v1
	s_or_b32 s0, vcc_lo, s0
	s_delay_alu instid0(SALU_CYCLE_1)
	s_and_not1_b32 exec_lo, exec_lo, s0
	s_cbranch_execnz .LBB8_6
.LBB8_7:
	s_endpgm
	.section	.rodata,"a",@progbits
	.p2align	6, 0x0
	.amdhsa_kernel _ZN9rocsparseL30csr2ell_strided_batched_kernelILj512EdiiEEvT2_PKT0_lPKT1_PKS1_21rocsparse_index_base_S1_PS1_PS2_lSA_
		.amdhsa_group_segment_fixed_size 0
		.amdhsa_private_segment_fixed_size 0
		.amdhsa_kernarg_size 76
		.amdhsa_user_sgpr_count 2
		.amdhsa_user_sgpr_dispatch_ptr 0
		.amdhsa_user_sgpr_queue_ptr 0
		.amdhsa_user_sgpr_kernarg_segment_ptr 1
		.amdhsa_user_sgpr_dispatch_id 0
		.amdhsa_user_sgpr_kernarg_preload_length 0
		.amdhsa_user_sgpr_kernarg_preload_offset 0
		.amdhsa_user_sgpr_private_segment_size 0
		.amdhsa_wavefront_size32 1
		.amdhsa_uses_dynamic_stack 0
		.amdhsa_enable_private_segment 0
		.amdhsa_system_sgpr_workgroup_id_x 1
		.amdhsa_system_sgpr_workgroup_id_y 1
		.amdhsa_system_sgpr_workgroup_id_z 0
		.amdhsa_system_sgpr_workgroup_info 0
		.amdhsa_system_vgpr_workitem_id 0
		.amdhsa_next_free_vgpr 12
		.amdhsa_next_free_sgpr 22
		.amdhsa_named_barrier_count 0
		.amdhsa_reserve_vcc 1
		.amdhsa_float_round_mode_32 0
		.amdhsa_float_round_mode_16_64 0
		.amdhsa_float_denorm_mode_32 3
		.amdhsa_float_denorm_mode_16_64 3
		.amdhsa_fp16_overflow 0
		.amdhsa_memory_ordered 1
		.amdhsa_forward_progress 1
		.amdhsa_inst_pref_size 5
		.amdhsa_round_robin_scheduling 0
		.amdhsa_exception_fp_ieee_invalid_op 0
		.amdhsa_exception_fp_denorm_src 0
		.amdhsa_exception_fp_ieee_div_zero 0
		.amdhsa_exception_fp_ieee_overflow 0
		.amdhsa_exception_fp_ieee_underflow 0
		.amdhsa_exception_fp_ieee_inexact 0
		.amdhsa_exception_int_div_zero 0
	.end_amdhsa_kernel
	.section	.text._ZN9rocsparseL30csr2ell_strided_batched_kernelILj512EdiiEEvT2_PKT0_lPKT1_PKS1_21rocsparse_index_base_S1_PS1_PS2_lSA_,"axG",@progbits,_ZN9rocsparseL30csr2ell_strided_batched_kernelILj512EdiiEEvT2_PKT0_lPKT1_PKS1_21rocsparse_index_base_S1_PS1_PS2_lSA_,comdat
.Lfunc_end8:
	.size	_ZN9rocsparseL30csr2ell_strided_batched_kernelILj512EdiiEEvT2_PKT0_lPKT1_PKS1_21rocsparse_index_base_S1_PS1_PS2_lSA_, .Lfunc_end8-_ZN9rocsparseL30csr2ell_strided_batched_kernelILj512EdiiEEvT2_PKT0_lPKT1_PKS1_21rocsparse_index_base_S1_PS1_PS2_lSA_
                                        ; -- End function
	.set _ZN9rocsparseL30csr2ell_strided_batched_kernelILj512EdiiEEvT2_PKT0_lPKT1_PKS1_21rocsparse_index_base_S1_PS1_PS2_lSA_.num_vgpr, 12
	.set _ZN9rocsparseL30csr2ell_strided_batched_kernelILj512EdiiEEvT2_PKT0_lPKT1_PKS1_21rocsparse_index_base_S1_PS1_PS2_lSA_.num_agpr, 0
	.set _ZN9rocsparseL30csr2ell_strided_batched_kernelILj512EdiiEEvT2_PKT0_lPKT1_PKS1_21rocsparse_index_base_S1_PS1_PS2_lSA_.numbered_sgpr, 22
	.set _ZN9rocsparseL30csr2ell_strided_batched_kernelILj512EdiiEEvT2_PKT0_lPKT1_PKS1_21rocsparse_index_base_S1_PS1_PS2_lSA_.num_named_barrier, 0
	.set _ZN9rocsparseL30csr2ell_strided_batched_kernelILj512EdiiEEvT2_PKT0_lPKT1_PKS1_21rocsparse_index_base_S1_PS1_PS2_lSA_.private_seg_size, 0
	.set _ZN9rocsparseL30csr2ell_strided_batched_kernelILj512EdiiEEvT2_PKT0_lPKT1_PKS1_21rocsparse_index_base_S1_PS1_PS2_lSA_.uses_vcc, 1
	.set _ZN9rocsparseL30csr2ell_strided_batched_kernelILj512EdiiEEvT2_PKT0_lPKT1_PKS1_21rocsparse_index_base_S1_PS1_PS2_lSA_.uses_flat_scratch, 0
	.set _ZN9rocsparseL30csr2ell_strided_batched_kernelILj512EdiiEEvT2_PKT0_lPKT1_PKS1_21rocsparse_index_base_S1_PS1_PS2_lSA_.has_dyn_sized_stack, 0
	.set _ZN9rocsparseL30csr2ell_strided_batched_kernelILj512EdiiEEvT2_PKT0_lPKT1_PKS1_21rocsparse_index_base_S1_PS1_PS2_lSA_.has_recursion, 0
	.set _ZN9rocsparseL30csr2ell_strided_batched_kernelILj512EdiiEEvT2_PKT0_lPKT1_PKS1_21rocsparse_index_base_S1_PS1_PS2_lSA_.has_indirect_call, 0
	.section	.AMDGPU.csdata,"",@progbits
; Kernel info:
; codeLenInByte = 556
; TotalNumSgprs: 24
; NumVgprs: 12
; ScratchSize: 0
; MemoryBound: 0
; FloatMode: 240
; IeeeMode: 1
; LDSByteSize: 0 bytes/workgroup (compile time only)
; SGPRBlocks: 0
; VGPRBlocks: 0
; NumSGPRsForWavesPerEU: 24
; NumVGPRsForWavesPerEU: 12
; NamedBarCnt: 0
; Occupancy: 16
; WaveLimiterHint : 0
; COMPUTE_PGM_RSRC2:SCRATCH_EN: 0
; COMPUTE_PGM_RSRC2:USER_SGPR: 2
; COMPUTE_PGM_RSRC2:TRAP_HANDLER: 0
; COMPUTE_PGM_RSRC2:TGID_X_EN: 1
; COMPUTE_PGM_RSRC2:TGID_Y_EN: 1
; COMPUTE_PGM_RSRC2:TGID_Z_EN: 0
; COMPUTE_PGM_RSRC2:TIDIG_COMP_CNT: 0
	.section	.text._ZN9rocsparseL30csr2ell_strided_batched_kernelILj512EdliEEvT2_PKT0_lPKT1_PKS1_21rocsparse_index_base_S1_PS1_PS2_lSA_,"axG",@progbits,_ZN9rocsparseL30csr2ell_strided_batched_kernelILj512EdliEEvT2_PKT0_lPKT1_PKS1_21rocsparse_index_base_S1_PS1_PS2_lSA_,comdat
	.globl	_ZN9rocsparseL30csr2ell_strided_batched_kernelILj512EdliEEvT2_PKT0_lPKT1_PKS1_21rocsparse_index_base_S1_PS1_PS2_lSA_ ; -- Begin function _ZN9rocsparseL30csr2ell_strided_batched_kernelILj512EdliEEvT2_PKT0_lPKT1_PKS1_21rocsparse_index_base_S1_PS1_PS2_lSA_
	.p2align	8
	.type	_ZN9rocsparseL30csr2ell_strided_batched_kernelILj512EdliEEvT2_PKT0_lPKT1_PKS1_21rocsparse_index_base_S1_PS1_PS2_lSA_,@function
_ZN9rocsparseL30csr2ell_strided_batched_kernelILj512EdliEEvT2_PKT0_lPKT1_PKS1_21rocsparse_index_base_S1_PS1_PS2_lSA_: ; @_ZN9rocsparseL30csr2ell_strided_batched_kernelILj512EdliEEvT2_PKT0_lPKT1_PKS1_21rocsparse_index_base_S1_PS1_PS2_lSA_
; %bb.0:
	s_load_b32 s18, s[0:1], 0x0
	s_bfe_u32 s2, ttmp6, 0x4000c
	s_and_b32 s3, ttmp6, 15
	s_add_co_i32 s2, s2, 1
	s_getreg_b32 s16, hwreg(HW_REG_IB_STS2, 6, 4)
	s_mul_i32 s2, ttmp9, s2
	s_mov_b32 s17, 0
	s_add_co_i32 s3, s3, s2
	s_cmp_eq_u32 s16, 0
	s_cselect_b32 s2, ttmp9, s3
	s_delay_alu instid0(SALU_CYCLE_1) | instskip(SKIP_3) | instid1(VALU_DEP_1)
	s_lshl_b32 s19, s2, 9
	s_mov_b32 s2, exec_lo
	v_or_b32_e32 v6, s19, v0
	s_wait_kmcnt 0x0
	v_cmpx_gt_i32_e64 s18, v6
	s_cbranch_execz .LBB9_7
; %bb.1:
	s_load_b256 s[4:11], s[0:1], 0x8
	v_ashrrev_i32_e32 v7, 31, v6
	s_mov_b32 s21, s17
	s_bfe_u32 s22, ttmp6, 0x40010
	s_bfe_u32 s23, ttmp6, 0x40004
	s_add_co_i32 s22, s22, 1
	s_delay_alu instid0(SALU_CYCLE_1) | instskip(NEXT) | instid1(SALU_CYCLE_1)
	s_mul_i32 s22, ttmp7, s22
	s_add_co_i32 s23, s23, s22
	s_cmp_eq_u32 s16, 0
	s_cselect_b32 s16, ttmp7, s23
	s_wait_kmcnt 0x0
	v_lshl_add_u64 v[2:3], v[6:7], 3, s[8:9]
	global_load_b128 v[2:5], v[2:3], off
	s_clause 0x2
	s_load_b64 s[2:3], s[0:1], 0x28
	s_load_b64 s[8:9], s[0:1], 0x40
	s_load_b128 s[12:15], s[0:1], 0x30
	s_wait_kmcnt 0x0
	s_mov_b32 s20, s2
	s_mul_u64 s[8:9], s[8:9], s[16:17]
	s_delay_alu instid0(SALU_CYCLE_1)
	s_lshl_b64 s[8:9], s[8:9], 3
	s_cmp_gt_i32 s3, 0
	s_add_nc_u64 s[8:9], s[14:15], s[8:9]
	s_wait_loadcnt 0x0
	v_sub_nc_u64_e64 v[8:9], v[2:3], s[20:21]
	v_sub_nc_u64_e64 v[4:5], v[4:5], s[20:21]
	s_cselect_b32 s20, -1, 0
	s_delay_alu instid0(VALU_DEP_2) | instskip(NEXT) | instid1(VALU_DEP_1)
	v_ashrrev_i32_e32 v9, 31, v8
	v_cmp_gt_i64_e32 vcc_lo, v[4:5], v[8:9]
	s_and_b32 s15, s20, vcc_lo
	s_delay_alu instid0(SALU_CYCLE_1)
	s_and_saveexec_b32 s14, s15
	s_cbranch_execz .LBB9_4
; %bb.2:
	s_load_b32 s15, s[0:1], 0x48
	v_subrev_nc_u32_e32 v1, s2, v2
	v_mov_b64_e32 v[10:11], v[8:9]
	s_wait_xcnt 0x0
	s_mul_u64 s[0:1], s[6:7], s[16:17]
	s_mov_b64 s[6:7], 0
	s_lshl_b64 s[0:1], s[0:1], 3
	v_dual_mov_b32 v1, v8 :: v_dual_add_nc_u32 v2, 1, v1
	s_add_nc_u64 s[0:1], s[4:5], s[0:1]
	s_mov_b32 s4, 0
	s_delay_alu instid0(VALU_DEP_1)
	v_ashrrev_i32_e32 v3, 31, v2
	s_wait_kmcnt 0x0
	s_sub_co_i32 s2, s15, s2
.LBB9_3:                                ; =>This Inner Loop Header: Depth=1
	v_lshl_add_u64 v[12:13], v[10:11], 2, s[10:11]
	v_lshl_add_u64 v[10:11], v[10:11], 3, s[0:1]
	s_add_nc_u64 s[16:17], s[6:7], 1
	global_load_b32 v7, v[12:13], off
	global_load_b64 v[14:15], v[10:11], off
	s_wait_xcnt 0x1
	v_add_nc_u64_e32 v[12:13], s[6:7], v[2:3]
	s_wait_xcnt 0x0
	v_add_nc_u32_e32 v10, 1, v1
	s_cmp_ge_i32 s16, s3
	s_mov_b64 s[6:7], s[16:17]
	s_cselect_b32 s5, -1, 0
	s_delay_alu instid0(VALU_DEP_2) | instskip(SKIP_1) | instid1(SALU_CYCLE_1)
	v_cmp_le_i64_e32 vcc_lo, v[4:5], v[12:13]
	s_or_b32 s5, vcc_lo, s5
	s_and_b32 s5, exec_lo, s5
	s_delay_alu instid0(SALU_CYCLE_1)
	s_or_b32 s4, s5, s4
	s_wait_loadcnt 0x1
	v_dual_add_nc_u32 v7, s2, v7 :: v_dual_ashrrev_i32 v11, 31, v10
	v_mov_b32_e32 v1, v10
	global_store_b32 v6, v7, s[12:13] scale_offset
	s_wait_loadcnt 0x0
	global_store_b64 v6, v[14:15], s[8:9] scale_offset
	s_wait_xcnt 0x0
	v_add_nc_u32_e32 v6, s18, v6
	s_and_not1_b32 exec_lo, exec_lo, s4
	s_cbranch_execnz .LBB9_3
.LBB9_4:
	s_or_b32 exec_lo, exec_lo, s14
	v_sub_nc_u32_e32 v1, v4, v8
	s_delay_alu instid0(VALU_DEP_1)
	v_cmp_gt_i32_e32 vcc_lo, s3, v1
	s_and_b32 exec_lo, exec_lo, vcc_lo
	s_cbranch_execz .LBB9_7
; %bb.5:
	v_mul_lo_u32 v4, s18, v1
	v_mov_b64_e32 v[2:3], 0
	s_mov_b32 s0, 0
	s_delay_alu instid0(VALU_DEP_2)
	v_add3_u32 v0, v0, v4, s19
	v_mov_b32_e32 v4, -1
.LBB9_6:                                ; =>This Inner Loop Header: Depth=1
	v_add_nc_u32_e32 v1, 1, v1
	s_clause 0x1
	global_store_b32 v0, v4, s[12:13] scale_offset
	global_store_b64 v0, v[2:3], s[8:9] scale_offset
	s_wait_xcnt 0x0
	v_add_nc_u32_e32 v0, s18, v0
	v_cmp_le_i32_e32 vcc_lo, s3, v1
	s_or_b32 s0, vcc_lo, s0
	s_delay_alu instid0(SALU_CYCLE_1)
	s_and_not1_b32 exec_lo, exec_lo, s0
	s_cbranch_execnz .LBB9_6
.LBB9_7:
	s_endpgm
	.section	.rodata,"a",@progbits
	.p2align	6, 0x0
	.amdhsa_kernel _ZN9rocsparseL30csr2ell_strided_batched_kernelILj512EdliEEvT2_PKT0_lPKT1_PKS1_21rocsparse_index_base_S1_PS1_PS2_lSA_
		.amdhsa_group_segment_fixed_size 0
		.amdhsa_private_segment_fixed_size 0
		.amdhsa_kernarg_size 76
		.amdhsa_user_sgpr_count 2
		.amdhsa_user_sgpr_dispatch_ptr 0
		.amdhsa_user_sgpr_queue_ptr 0
		.amdhsa_user_sgpr_kernarg_segment_ptr 1
		.amdhsa_user_sgpr_dispatch_id 0
		.amdhsa_user_sgpr_kernarg_preload_length 0
		.amdhsa_user_sgpr_kernarg_preload_offset 0
		.amdhsa_user_sgpr_private_segment_size 0
		.amdhsa_wavefront_size32 1
		.amdhsa_uses_dynamic_stack 0
		.amdhsa_enable_private_segment 0
		.amdhsa_system_sgpr_workgroup_id_x 1
		.amdhsa_system_sgpr_workgroup_id_y 1
		.amdhsa_system_sgpr_workgroup_id_z 0
		.amdhsa_system_sgpr_workgroup_info 0
		.amdhsa_system_vgpr_workitem_id 0
		.amdhsa_next_free_vgpr 16
		.amdhsa_next_free_sgpr 24
		.amdhsa_named_barrier_count 0
		.amdhsa_reserve_vcc 1
		.amdhsa_float_round_mode_32 0
		.amdhsa_float_round_mode_16_64 0
		.amdhsa_float_denorm_mode_32 3
		.amdhsa_float_denorm_mode_16_64 3
		.amdhsa_fp16_overflow 0
		.amdhsa_memory_ordered 1
		.amdhsa_forward_progress 1
		.amdhsa_inst_pref_size 5
		.amdhsa_round_robin_scheduling 0
		.amdhsa_exception_fp_ieee_invalid_op 0
		.amdhsa_exception_fp_denorm_src 0
		.amdhsa_exception_fp_ieee_div_zero 0
		.amdhsa_exception_fp_ieee_overflow 0
		.amdhsa_exception_fp_ieee_underflow 0
		.amdhsa_exception_fp_ieee_inexact 0
		.amdhsa_exception_int_div_zero 0
	.end_amdhsa_kernel
	.section	.text._ZN9rocsparseL30csr2ell_strided_batched_kernelILj512EdliEEvT2_PKT0_lPKT1_PKS1_21rocsparse_index_base_S1_PS1_PS2_lSA_,"axG",@progbits,_ZN9rocsparseL30csr2ell_strided_batched_kernelILj512EdliEEvT2_PKT0_lPKT1_PKS1_21rocsparse_index_base_S1_PS1_PS2_lSA_,comdat
.Lfunc_end9:
	.size	_ZN9rocsparseL30csr2ell_strided_batched_kernelILj512EdliEEvT2_PKT0_lPKT1_PKS1_21rocsparse_index_base_S1_PS1_PS2_lSA_, .Lfunc_end9-_ZN9rocsparseL30csr2ell_strided_batched_kernelILj512EdliEEvT2_PKT0_lPKT1_PKS1_21rocsparse_index_base_S1_PS1_PS2_lSA_
                                        ; -- End function
	.set _ZN9rocsparseL30csr2ell_strided_batched_kernelILj512EdliEEvT2_PKT0_lPKT1_PKS1_21rocsparse_index_base_S1_PS1_PS2_lSA_.num_vgpr, 16
	.set _ZN9rocsparseL30csr2ell_strided_batched_kernelILj512EdliEEvT2_PKT0_lPKT1_PKS1_21rocsparse_index_base_S1_PS1_PS2_lSA_.num_agpr, 0
	.set _ZN9rocsparseL30csr2ell_strided_batched_kernelILj512EdliEEvT2_PKT0_lPKT1_PKS1_21rocsparse_index_base_S1_PS1_PS2_lSA_.numbered_sgpr, 24
	.set _ZN9rocsparseL30csr2ell_strided_batched_kernelILj512EdliEEvT2_PKT0_lPKT1_PKS1_21rocsparse_index_base_S1_PS1_PS2_lSA_.num_named_barrier, 0
	.set _ZN9rocsparseL30csr2ell_strided_batched_kernelILj512EdliEEvT2_PKT0_lPKT1_PKS1_21rocsparse_index_base_S1_PS1_PS2_lSA_.private_seg_size, 0
	.set _ZN9rocsparseL30csr2ell_strided_batched_kernelILj512EdliEEvT2_PKT0_lPKT1_PKS1_21rocsparse_index_base_S1_PS1_PS2_lSA_.uses_vcc, 1
	.set _ZN9rocsparseL30csr2ell_strided_batched_kernelILj512EdliEEvT2_PKT0_lPKT1_PKS1_21rocsparse_index_base_S1_PS1_PS2_lSA_.uses_flat_scratch, 0
	.set _ZN9rocsparseL30csr2ell_strided_batched_kernelILj512EdliEEvT2_PKT0_lPKT1_PKS1_21rocsparse_index_base_S1_PS1_PS2_lSA_.has_dyn_sized_stack, 0
	.set _ZN9rocsparseL30csr2ell_strided_batched_kernelILj512EdliEEvT2_PKT0_lPKT1_PKS1_21rocsparse_index_base_S1_PS1_PS2_lSA_.has_recursion, 0
	.set _ZN9rocsparseL30csr2ell_strided_batched_kernelILj512EdliEEvT2_PKT0_lPKT1_PKS1_21rocsparse_index_base_S1_PS1_PS2_lSA_.has_indirect_call, 0
	.section	.AMDGPU.csdata,"",@progbits
; Kernel info:
; codeLenInByte = 612
; TotalNumSgprs: 26
; NumVgprs: 16
; ScratchSize: 0
; MemoryBound: 0
; FloatMode: 240
; IeeeMode: 1
; LDSByteSize: 0 bytes/workgroup (compile time only)
; SGPRBlocks: 0
; VGPRBlocks: 0
; NumSGPRsForWavesPerEU: 26
; NumVGPRsForWavesPerEU: 16
; NamedBarCnt: 0
; Occupancy: 16
; WaveLimiterHint : 0
; COMPUTE_PGM_RSRC2:SCRATCH_EN: 0
; COMPUTE_PGM_RSRC2:USER_SGPR: 2
; COMPUTE_PGM_RSRC2:TRAP_HANDLER: 0
; COMPUTE_PGM_RSRC2:TGID_X_EN: 1
; COMPUTE_PGM_RSRC2:TGID_Y_EN: 1
; COMPUTE_PGM_RSRC2:TGID_Z_EN: 0
; COMPUTE_PGM_RSRC2:TIDIG_COMP_CNT: 0
	.section	.text._ZN9rocsparseL30csr2ell_strided_batched_kernelILj512EdilEEvT2_PKT0_lPKT1_PKS1_21rocsparse_index_base_S1_PS1_PS2_lSA_,"axG",@progbits,_ZN9rocsparseL30csr2ell_strided_batched_kernelILj512EdilEEvT2_PKT0_lPKT1_PKS1_21rocsparse_index_base_S1_PS1_PS2_lSA_,comdat
	.globl	_ZN9rocsparseL30csr2ell_strided_batched_kernelILj512EdilEEvT2_PKT0_lPKT1_PKS1_21rocsparse_index_base_S1_PS1_PS2_lSA_ ; -- Begin function _ZN9rocsparseL30csr2ell_strided_batched_kernelILj512EdilEEvT2_PKT0_lPKT1_PKS1_21rocsparse_index_base_S1_PS1_PS2_lSA_
	.p2align	8
	.type	_ZN9rocsparseL30csr2ell_strided_batched_kernelILj512EdilEEvT2_PKT0_lPKT1_PKS1_21rocsparse_index_base_S1_PS1_PS2_lSA_,@function
_ZN9rocsparseL30csr2ell_strided_batched_kernelILj512EdilEEvT2_PKT0_lPKT1_PKS1_21rocsparse_index_base_S1_PS1_PS2_lSA_: ; @_ZN9rocsparseL30csr2ell_strided_batched_kernelILj512EdilEEvT2_PKT0_lPKT1_PKS1_21rocsparse_index_base_S1_PS1_PS2_lSA_
; %bb.0:
	s_load_b256 s[4:11], s[0:1], 0x0
	s_bfe_u32 s2, ttmp6, 0x4000c
	s_and_b32 s3, ttmp6, 15
	s_add_co_i32 s2, s2, 1
	s_mov_b32 s25, 0
	s_mul_i32 s12, ttmp9, s2
	s_getreg_b32 s2, hwreg(HW_REG_IB_STS2, 6, 4)
	s_add_co_i32 s3, s3, s12
	s_cmp_eq_u32 s2, 0
	v_mov_b32_e32 v3, 0
	s_cselect_b32 s3, ttmp9, s3
	s_delay_alu instid0(SALU_CYCLE_1) | instskip(SKIP_3) | instid1(VALU_DEP_1)
	s_lshl_b32 s23, s3, 9
	s_mov_b32 s3, exec_lo
	v_or_b32_e32 v2, s23, v0
	s_wait_kmcnt 0x0
	v_cmpx_gt_i64_e64 s[4:5], v[2:3]
	s_cbranch_execz .LBB10_7
; %bb.1:
	v_lshl_add_u64 v[4:5], v[2:3], 2, s[10:11]
	s_bfe_u32 s3, ttmp6, 0x40010
	s_bfe_u32 s5, ttmp6, 0x40004
	s_add_co_i32 s3, s3, 1
	s_delay_alu instid0(SALU_CYCLE_1)
	s_mul_i32 s3, ttmp7, s3
	global_load_b64 v[4:5], v[4:5], off
	s_clause 0x1
	s_load_b256 s[12:19], s[0:1], 0x30
	s_load_b96 s[20:22], s[0:1], 0x20
	s_add_co_i32 s5, s5, s3
	s_cmp_eq_u32 s2, 0
	s_cselect_b32 s24, ttmp7, s5
	s_wait_kmcnt 0x0
	v_cmp_gt_i64_e64 s5, s[12:13], 0
	s_mul_u64 s[2:3], s[18:19], s[24:25]
	s_delay_alu instid0(SALU_CYCLE_1) | instskip(NEXT) | instid1(SALU_CYCLE_1)
	s_lshl_b64 s[2:3], s[2:3], 3
	s_add_nc_u64 s[2:3], s[16:17], s[2:3]
	s_wait_loadcnt 0x0
	v_cmp_lt_i32_e32 vcc_lo, v4, v5
	v_subrev_nc_u32_e32 v4, s22, v4
	v_subrev_nc_u32_e32 v1, s22, v5
	s_and_b32 s10, s5, vcc_lo
	s_delay_alu instid0(SALU_CYCLE_1)
	s_and_saveexec_b32 s5, s10
	s_cbranch_execz .LBB10_4
; %bb.2:
	s_load_b32 s0, s[0:1], 0x50
	v_ashrrev_i32_e32 v5, 31, v4
	s_mul_u64 s[8:9], s[8:9], s[24:25]
	s_wait_xcnt 0x0
	s_mov_b32 s1, 0
	s_lshl_b64 s[8:9], s[8:9], 3
	v_lshlrev_b64_e32 v[8:9], 3, v[4:5]
	s_add_nc_u64 s[6:7], s[6:7], s[8:9]
	s_mov_b64 s[8:9], 1
	s_delay_alu instid0(VALU_DEP_1)
	v_add_nc_u64_e32 v[6:7], s[20:21], v[8:9]
	v_add_nc_u64_e32 v[8:9], s[6:7], v[8:9]
	s_mov_b32 s6, s22
	s_mov_b32 s7, s1
	s_wait_kmcnt 0x0
	s_sub_nc_u64 s[6:7], s[0:1], s[6:7]
.LBB10_3:                               ; =>This Inner Loop Header: Depth=1
	global_load_b64 v[10:11], v[6:7], off
	global_load_b64 v[12:13], v[8:9], off
	v_add_nc_u32_e32 v3, s8, v4
	v_cmp_ge_i64_e64 s0, s[8:9], s[12:13]
	s_wait_xcnt 0x1
	v_add_nc_u64_e32 v[6:7], 8, v[6:7]
	s_wait_xcnt 0x0
	v_add_nc_u64_e32 v[8:9], 8, v[8:9]
	s_add_nc_u64 s[8:9], s[8:9], 1
	s_wait_loadcnt 0x1
	v_add_nc_u64_e32 v[10:11], s[6:7], v[10:11]
	global_store_b64 v2, v[10:11], s[14:15] scale_offset
	s_wait_loadcnt 0x0
	global_store_b64 v2, v[12:13], s[2:3] scale_offset
	s_wait_xcnt 0x0
	v_add_nc_u32_e32 v2, s4, v2
	v_cmp_ge_i32_e32 vcc_lo, v3, v1
	s_or_b32 s0, vcc_lo, s0
	s_delay_alu instid0(SALU_CYCLE_1) | instskip(NEXT) | instid1(SALU_CYCLE_1)
	s_and_b32 s0, exec_lo, s0
	s_or_b32 s1, s0, s1
	s_delay_alu instid0(SALU_CYCLE_1)
	s_and_not1_b32 exec_lo, exec_lo, s1
	s_cbranch_execnz .LBB10_3
.LBB10_4:
	s_or_b32 exec_lo, exec_lo, s5
	v_sub_nc_u32_e32 v2, v1, v4
	s_delay_alu instid0(VALU_DEP_1) | instskip(NEXT) | instid1(VALU_DEP_1)
	v_ashrrev_i32_e32 v3, 31, v2
	v_cmp_gt_i64_e32 vcc_lo, s[12:13], v[2:3]
	s_and_b32 exec_lo, exec_lo, vcc_lo
	s_cbranch_execz .LBB10_7
; %bb.5:
	v_mul_lo_u32 v1, v2, s4
	v_mov_b64_e32 v[4:5], -1
	v_mov_b64_e32 v[6:7], 0
	s_mov_b32 s0, 0
	s_delay_alu instid0(VALU_DEP_3)
	v_add3_u32 v0, v0, v1, s23
.LBB10_6:                               ; =>This Inner Loop Header: Depth=1
	v_add_nc_u64_e32 v[2:3], 1, v[2:3]
	s_clause 0x1
	global_store_b64 v0, v[4:5], s[14:15] scale_offset
	global_store_b64 v0, v[6:7], s[2:3] scale_offset
	s_wait_xcnt 0x0
	v_add_nc_u32_e32 v0, s4, v0
	v_cmp_le_i64_e32 vcc_lo, s[12:13], v[2:3]
	s_or_b32 s0, vcc_lo, s0
	s_delay_alu instid0(SALU_CYCLE_1)
	s_and_not1_b32 exec_lo, exec_lo, s0
	s_cbranch_execnz .LBB10_6
.LBB10_7:
	s_endpgm
	.section	.rodata,"a",@progbits
	.p2align	6, 0x0
	.amdhsa_kernel _ZN9rocsparseL30csr2ell_strided_batched_kernelILj512EdilEEvT2_PKT0_lPKT1_PKS1_21rocsparse_index_base_S1_PS1_PS2_lSA_
		.amdhsa_group_segment_fixed_size 0
		.amdhsa_private_segment_fixed_size 0
		.amdhsa_kernarg_size 84
		.amdhsa_user_sgpr_count 2
		.amdhsa_user_sgpr_dispatch_ptr 0
		.amdhsa_user_sgpr_queue_ptr 0
		.amdhsa_user_sgpr_kernarg_segment_ptr 1
		.amdhsa_user_sgpr_dispatch_id 0
		.amdhsa_user_sgpr_kernarg_preload_length 0
		.amdhsa_user_sgpr_kernarg_preload_offset 0
		.amdhsa_user_sgpr_private_segment_size 0
		.amdhsa_wavefront_size32 1
		.amdhsa_uses_dynamic_stack 0
		.amdhsa_enable_private_segment 0
		.amdhsa_system_sgpr_workgroup_id_x 1
		.amdhsa_system_sgpr_workgroup_id_y 1
		.amdhsa_system_sgpr_workgroup_id_z 0
		.amdhsa_system_sgpr_workgroup_info 0
		.amdhsa_system_vgpr_workitem_id 0
		.amdhsa_next_free_vgpr 14
		.amdhsa_next_free_sgpr 26
		.amdhsa_named_barrier_count 0
		.amdhsa_reserve_vcc 1
		.amdhsa_float_round_mode_32 0
		.amdhsa_float_round_mode_16_64 0
		.amdhsa_float_denorm_mode_32 3
		.amdhsa_float_denorm_mode_16_64 3
		.amdhsa_fp16_overflow 0
		.amdhsa_memory_ordered 1
		.amdhsa_forward_progress 1
		.amdhsa_inst_pref_size 5
		.amdhsa_round_robin_scheduling 0
		.amdhsa_exception_fp_ieee_invalid_op 0
		.amdhsa_exception_fp_denorm_src 0
		.amdhsa_exception_fp_ieee_div_zero 0
		.amdhsa_exception_fp_ieee_overflow 0
		.amdhsa_exception_fp_ieee_underflow 0
		.amdhsa_exception_fp_ieee_inexact 0
		.amdhsa_exception_int_div_zero 0
	.end_amdhsa_kernel
	.section	.text._ZN9rocsparseL30csr2ell_strided_batched_kernelILj512EdilEEvT2_PKT0_lPKT1_PKS1_21rocsparse_index_base_S1_PS1_PS2_lSA_,"axG",@progbits,_ZN9rocsparseL30csr2ell_strided_batched_kernelILj512EdilEEvT2_PKT0_lPKT1_PKS1_21rocsparse_index_base_S1_PS1_PS2_lSA_,comdat
.Lfunc_end10:
	.size	_ZN9rocsparseL30csr2ell_strided_batched_kernelILj512EdilEEvT2_PKT0_lPKT1_PKS1_21rocsparse_index_base_S1_PS1_PS2_lSA_, .Lfunc_end10-_ZN9rocsparseL30csr2ell_strided_batched_kernelILj512EdilEEvT2_PKT0_lPKT1_PKS1_21rocsparse_index_base_S1_PS1_PS2_lSA_
                                        ; -- End function
	.set _ZN9rocsparseL30csr2ell_strided_batched_kernelILj512EdilEEvT2_PKT0_lPKT1_PKS1_21rocsparse_index_base_S1_PS1_PS2_lSA_.num_vgpr, 14
	.set _ZN9rocsparseL30csr2ell_strided_batched_kernelILj512EdilEEvT2_PKT0_lPKT1_PKS1_21rocsparse_index_base_S1_PS1_PS2_lSA_.num_agpr, 0
	.set _ZN9rocsparseL30csr2ell_strided_batched_kernelILj512EdilEEvT2_PKT0_lPKT1_PKS1_21rocsparse_index_base_S1_PS1_PS2_lSA_.numbered_sgpr, 26
	.set _ZN9rocsparseL30csr2ell_strided_batched_kernelILj512EdilEEvT2_PKT0_lPKT1_PKS1_21rocsparse_index_base_S1_PS1_PS2_lSA_.num_named_barrier, 0
	.set _ZN9rocsparseL30csr2ell_strided_batched_kernelILj512EdilEEvT2_PKT0_lPKT1_PKS1_21rocsparse_index_base_S1_PS1_PS2_lSA_.private_seg_size, 0
	.set _ZN9rocsparseL30csr2ell_strided_batched_kernelILj512EdilEEvT2_PKT0_lPKT1_PKS1_21rocsparse_index_base_S1_PS1_PS2_lSA_.uses_vcc, 1
	.set _ZN9rocsparseL30csr2ell_strided_batched_kernelILj512EdilEEvT2_PKT0_lPKT1_PKS1_21rocsparse_index_base_S1_PS1_PS2_lSA_.uses_flat_scratch, 0
	.set _ZN9rocsparseL30csr2ell_strided_batched_kernelILj512EdilEEvT2_PKT0_lPKT1_PKS1_21rocsparse_index_base_S1_PS1_PS2_lSA_.has_dyn_sized_stack, 0
	.set _ZN9rocsparseL30csr2ell_strided_batched_kernelILj512EdilEEvT2_PKT0_lPKT1_PKS1_21rocsparse_index_base_S1_PS1_PS2_lSA_.has_recursion, 0
	.set _ZN9rocsparseL30csr2ell_strided_batched_kernelILj512EdilEEvT2_PKT0_lPKT1_PKS1_21rocsparse_index_base_S1_PS1_PS2_lSA_.has_indirect_call, 0
	.section	.AMDGPU.csdata,"",@progbits
; Kernel info:
; codeLenInByte = 548
; TotalNumSgprs: 28
; NumVgprs: 14
; ScratchSize: 0
; MemoryBound: 0
; FloatMode: 240
; IeeeMode: 1
; LDSByteSize: 0 bytes/workgroup (compile time only)
; SGPRBlocks: 0
; VGPRBlocks: 0
; NumSGPRsForWavesPerEU: 28
; NumVGPRsForWavesPerEU: 14
; NamedBarCnt: 0
; Occupancy: 16
; WaveLimiterHint : 0
; COMPUTE_PGM_RSRC2:SCRATCH_EN: 0
; COMPUTE_PGM_RSRC2:USER_SGPR: 2
; COMPUTE_PGM_RSRC2:TRAP_HANDLER: 0
; COMPUTE_PGM_RSRC2:TGID_X_EN: 1
; COMPUTE_PGM_RSRC2:TGID_Y_EN: 1
; COMPUTE_PGM_RSRC2:TGID_Z_EN: 0
; COMPUTE_PGM_RSRC2:TIDIG_COMP_CNT: 0
	.section	.text._ZN9rocsparseL30csr2ell_strided_batched_kernelILj512EdllEEvT2_PKT0_lPKT1_PKS1_21rocsparse_index_base_S1_PS1_PS2_lSA_,"axG",@progbits,_ZN9rocsparseL30csr2ell_strided_batched_kernelILj512EdllEEvT2_PKT0_lPKT1_PKS1_21rocsparse_index_base_S1_PS1_PS2_lSA_,comdat
	.globl	_ZN9rocsparseL30csr2ell_strided_batched_kernelILj512EdllEEvT2_PKT0_lPKT1_PKS1_21rocsparse_index_base_S1_PS1_PS2_lSA_ ; -- Begin function _ZN9rocsparseL30csr2ell_strided_batched_kernelILj512EdllEEvT2_PKT0_lPKT1_PKS1_21rocsparse_index_base_S1_PS1_PS2_lSA_
	.p2align	8
	.type	_ZN9rocsparseL30csr2ell_strided_batched_kernelILj512EdllEEvT2_PKT0_lPKT1_PKS1_21rocsparse_index_base_S1_PS1_PS2_lSA_,@function
_ZN9rocsparseL30csr2ell_strided_batched_kernelILj512EdllEEvT2_PKT0_lPKT1_PKS1_21rocsparse_index_base_S1_PS1_PS2_lSA_: ; @_ZN9rocsparseL30csr2ell_strided_batched_kernelILj512EdllEEvT2_PKT0_lPKT1_PKS1_21rocsparse_index_base_S1_PS1_PS2_lSA_
; %bb.0:
	s_load_b256 s[4:11], s[0:1], 0x0
	s_bfe_u32 s2, ttmp6, 0x4000c
	s_and_b32 s3, ttmp6, 15
	s_add_co_i32 s2, s2, 1
	v_mov_b32_e32 v5, 0
	s_mul_i32 s12, ttmp9, s2
	s_getreg_b32 s2, hwreg(HW_REG_IB_STS2, 6, 4)
	s_add_co_i32 s3, s3, s12
	s_cmp_eq_u32 s2, 0
	s_mov_b32 s25, 0
	s_cselect_b32 s3, ttmp9, s3
	s_delay_alu instid0(SALU_CYCLE_1) | instskip(SKIP_2) | instid1(VALU_DEP_1)
	v_lshl_or_b32 v4, s3, 9, v0
	s_mov_b32 s3, exec_lo
	s_wait_kmcnt 0x0
	v_cmpx_gt_i64_e64 s[4:5], v[4:5]
	s_cbranch_execz .LBB11_7
; %bb.1:
	v_lshl_add_u64 v[0:1], v[4:5], 3, s[10:11]
	s_mov_b32 s11, s25
	s_bfe_u32 s3, ttmp6, 0x40010
	s_bfe_u32 s23, ttmp6, 0x40004
	s_add_co_i32 s3, s3, 1
	global_load_b128 v[0:3], v[0:1], off
	s_clause 0x1
	s_load_b96 s[20:22], s[0:1], 0x20
	s_load_b256 s[12:19], s[0:1], 0x30
	s_mul_i32 s3, ttmp7, s3
	s_delay_alu instid0(SALU_CYCLE_1)
	s_add_co_i32 s23, s23, s3
	s_cmp_eq_u32 s2, 0
	s_cselect_b32 s24, ttmp7, s23
	s_wait_kmcnt 0x0
	s_mov_b32 s10, s22
	v_cmp_gt_i64_e64 s23, s[12:13], 0
	s_mul_u64 s[2:3], s[18:19], s[24:25]
	s_delay_alu instid0(SALU_CYCLE_1) | instskip(NEXT) | instid1(SALU_CYCLE_1)
	s_lshl_b64 s[2:3], s[2:3], 3
	s_add_nc_u64 s[2:3], s[16:17], s[2:3]
	s_wait_loadcnt 0x0
	v_sub_nc_u64_e64 v[6:7], v[0:1], s[10:11]
	v_sub_nc_u64_e64 v[2:3], v[2:3], s[10:11]
	s_delay_alu instid0(VALU_DEP_2) | instskip(NEXT) | instid1(VALU_DEP_1)
	v_dual_mov_b32 v8, v6 :: v_dual_ashrrev_i32 v9, 31, v6
	v_cmp_gt_i64_e32 vcc_lo, v[2:3], v[8:9]
	s_and_b32 s17, s23, vcc_lo
	s_delay_alu instid0(SALU_CYCLE_1)
	s_and_saveexec_b32 s16, s17
	s_cbranch_execz .LBB11_4
; %bb.2:
	s_load_b32 s0, s[0:1], 0x50
	v_subrev_nc_u32_e32 v0, s22, v0
	s_mul_u64 s[8:9], s[8:9], s[24:25]
	s_wait_xcnt 0x0
	s_mov_b32 s1, 0
	s_lshl_b64 s[8:9], s[8:9], 3
	v_dual_mov_b32 v10, v4 :: v_dual_add_nc_u32 v0, 1, v0
	v_mov_b32_e32 v11, v6
	s_add_nc_u64 s[6:7], s[6:7], s[8:9]
	s_delay_alu instid0(VALU_DEP_2)
	v_ashrrev_i32_e32 v1, 31, v0
	s_wait_kmcnt 0x0
	s_sub_nc_u64 s[8:9], s[0:1], s[10:11]
	s_mov_b64 s[10:11], 1
.LBB11_3:                               ; =>This Inner Loop Header: Depth=1
	s_delay_alu instid0(VALU_DEP_2) | instskip(SKIP_1) | instid1(VALU_DEP_2)
	v_lshlrev_b64_e32 v[8:9], 3, v[8:9]
	v_cmp_ge_i64_e64 s0, s[10:11], s[12:13]
	v_add_nc_u64_e32 v[12:13], s[20:21], v[8:9]
	v_add_nc_u64_e32 v[8:9], s[6:7], v[8:9]
	global_load_b64 v[14:15], v[12:13], off
	global_load_b64 v[16:17], v[8:9], off
	s_wait_xcnt 0x0
	v_add_nc_u64_e32 v[8:9], s[10:11], v[0:1]
	s_add_nc_u64 s[10:11], s[10:11], 1
	s_delay_alu instid0(VALU_DEP_1) | instskip(SKIP_1) | instid1(VALU_DEP_2)
	v_add_nc_u64_e32 v[12:13], -1, v[8:9]
	v_add_nc_u32_e32 v8, 1, v11
	v_cmp_le_i64_e32 vcc_lo, v[2:3], v[12:13]
	s_or_b32 s0, vcc_lo, s0
	s_delay_alu instid0(SALU_CYCLE_1) | instskip(NEXT) | instid1(SALU_CYCLE_1)
	s_and_b32 s0, exec_lo, s0
	s_or_b32 s1, s0, s1
	s_wait_loadcnt 0x1
	v_add_nc_u64_e32 v[12:13], s[8:9], v[14:15]
	global_store_b64 v10, v[12:13], s[14:15] scale_offset
	s_wait_loadcnt 0x0
	global_store_b64 v10, v[16:17], s[2:3] scale_offset
	s_wait_xcnt 0x0
	v_dual_add_nc_u32 v10, s4, v10 :: v_dual_ashrrev_i32 v9, 31, v8
	v_mov_b32_e32 v11, v8
	s_and_not1_b32 exec_lo, exec_lo, s1
	s_cbranch_execnz .LBB11_3
.LBB11_4:
	s_or_b32 exec_lo, exec_lo, s16
	v_sub_nc_u64_e32 v[0:1], v[2:3], v[6:7]
	s_delay_alu instid0(VALU_DEP_1)
	v_cmp_gt_i64_e32 vcc_lo, s[12:13], v[0:1]
	s_and_b32 exec_lo, exec_lo, vcc_lo
	s_cbranch_execz .LBB11_7
; %bb.5:
	v_mul_u64_e32 v[6:7], s[4:5], v[0:1]
	v_lshlrev_b64_e32 v[8:9], 3, v[4:5]
	v_mov_b64_e32 v[2:3], -1
	v_mov_b64_e32 v[4:5], 0
	s_lshl_b64 s[0:1], s[4:5], 3
	s_mov_b32 s4, 0
	s_delay_alu instid0(VALU_DEP_3)
	v_lshl_add_u64 v[6:7], v[6:7], 3, v[8:9]
.LBB11_6:                               ; =>This Inner Loop Header: Depth=1
	v_add_nc_u64_e32 v[0:1], 1, v[0:1]
	s_delay_alu instid0(VALU_DEP_2)
	v_add_nc_u64_e32 v[8:9], s[14:15], v[6:7]
	v_add_nc_u64_e32 v[10:11], s[2:3], v[6:7]
	;; [unrolled: 1-line block ×3, first 2 shown]
	global_store_b64 v[8:9], v[2:3], off
	global_store_b64 v[10:11], v[4:5], off
	v_cmp_le_i64_e32 vcc_lo, s[12:13], v[0:1]
	s_or_b32 s4, vcc_lo, s4
	s_wait_xcnt 0x0
	s_and_not1_b32 exec_lo, exec_lo, s4
	s_cbranch_execnz .LBB11_6
.LBB11_7:
	s_endpgm
	.section	.rodata,"a",@progbits
	.p2align	6, 0x0
	.amdhsa_kernel _ZN9rocsparseL30csr2ell_strided_batched_kernelILj512EdllEEvT2_PKT0_lPKT1_PKS1_21rocsparse_index_base_S1_PS1_PS2_lSA_
		.amdhsa_group_segment_fixed_size 0
		.amdhsa_private_segment_fixed_size 0
		.amdhsa_kernarg_size 84
		.amdhsa_user_sgpr_count 2
		.amdhsa_user_sgpr_dispatch_ptr 0
		.amdhsa_user_sgpr_queue_ptr 0
		.amdhsa_user_sgpr_kernarg_segment_ptr 1
		.amdhsa_user_sgpr_dispatch_id 0
		.amdhsa_user_sgpr_kernarg_preload_length 0
		.amdhsa_user_sgpr_kernarg_preload_offset 0
		.amdhsa_user_sgpr_private_segment_size 0
		.amdhsa_wavefront_size32 1
		.amdhsa_uses_dynamic_stack 0
		.amdhsa_enable_private_segment 0
		.amdhsa_system_sgpr_workgroup_id_x 1
		.amdhsa_system_sgpr_workgroup_id_y 1
		.amdhsa_system_sgpr_workgroup_id_z 0
		.amdhsa_system_sgpr_workgroup_info 0
		.amdhsa_system_vgpr_workitem_id 0
		.amdhsa_next_free_vgpr 18
		.amdhsa_next_free_sgpr 26
		.amdhsa_named_barrier_count 0
		.amdhsa_reserve_vcc 1
		.amdhsa_float_round_mode_32 0
		.amdhsa_float_round_mode_16_64 0
		.amdhsa_float_denorm_mode_32 3
		.amdhsa_float_denorm_mode_16_64 3
		.amdhsa_fp16_overflow 0
		.amdhsa_memory_ordered 1
		.amdhsa_forward_progress 1
		.amdhsa_inst_pref_size 5
		.amdhsa_round_robin_scheduling 0
		.amdhsa_exception_fp_ieee_invalid_op 0
		.amdhsa_exception_fp_denorm_src 0
		.amdhsa_exception_fp_ieee_div_zero 0
		.amdhsa_exception_fp_ieee_overflow 0
		.amdhsa_exception_fp_ieee_underflow 0
		.amdhsa_exception_fp_ieee_inexact 0
		.amdhsa_exception_int_div_zero 0
	.end_amdhsa_kernel
	.section	.text._ZN9rocsparseL30csr2ell_strided_batched_kernelILj512EdllEEvT2_PKT0_lPKT1_PKS1_21rocsparse_index_base_S1_PS1_PS2_lSA_,"axG",@progbits,_ZN9rocsparseL30csr2ell_strided_batched_kernelILj512EdllEEvT2_PKT0_lPKT1_PKS1_21rocsparse_index_base_S1_PS1_PS2_lSA_,comdat
.Lfunc_end11:
	.size	_ZN9rocsparseL30csr2ell_strided_batched_kernelILj512EdllEEvT2_PKT0_lPKT1_PKS1_21rocsparse_index_base_S1_PS1_PS2_lSA_, .Lfunc_end11-_ZN9rocsparseL30csr2ell_strided_batched_kernelILj512EdllEEvT2_PKT0_lPKT1_PKS1_21rocsparse_index_base_S1_PS1_PS2_lSA_
                                        ; -- End function
	.set _ZN9rocsparseL30csr2ell_strided_batched_kernelILj512EdllEEvT2_PKT0_lPKT1_PKS1_21rocsparse_index_base_S1_PS1_PS2_lSA_.num_vgpr, 18
	.set _ZN9rocsparseL30csr2ell_strided_batched_kernelILj512EdllEEvT2_PKT0_lPKT1_PKS1_21rocsparse_index_base_S1_PS1_PS2_lSA_.num_agpr, 0
	.set _ZN9rocsparseL30csr2ell_strided_batched_kernelILj512EdllEEvT2_PKT0_lPKT1_PKS1_21rocsparse_index_base_S1_PS1_PS2_lSA_.numbered_sgpr, 26
	.set _ZN9rocsparseL30csr2ell_strided_batched_kernelILj512EdllEEvT2_PKT0_lPKT1_PKS1_21rocsparse_index_base_S1_PS1_PS2_lSA_.num_named_barrier, 0
	.set _ZN9rocsparseL30csr2ell_strided_batched_kernelILj512EdllEEvT2_PKT0_lPKT1_PKS1_21rocsparse_index_base_S1_PS1_PS2_lSA_.private_seg_size, 0
	.set _ZN9rocsparseL30csr2ell_strided_batched_kernelILj512EdllEEvT2_PKT0_lPKT1_PKS1_21rocsparse_index_base_S1_PS1_PS2_lSA_.uses_vcc, 1
	.set _ZN9rocsparseL30csr2ell_strided_batched_kernelILj512EdllEEvT2_PKT0_lPKT1_PKS1_21rocsparse_index_base_S1_PS1_PS2_lSA_.uses_flat_scratch, 0
	.set _ZN9rocsparseL30csr2ell_strided_batched_kernelILj512EdllEEvT2_PKT0_lPKT1_PKS1_21rocsparse_index_base_S1_PS1_PS2_lSA_.has_dyn_sized_stack, 0
	.set _ZN9rocsparseL30csr2ell_strided_batched_kernelILj512EdllEEvT2_PKT0_lPKT1_PKS1_21rocsparse_index_base_S1_PS1_PS2_lSA_.has_recursion, 0
	.set _ZN9rocsparseL30csr2ell_strided_batched_kernelILj512EdllEEvT2_PKT0_lPKT1_PKS1_21rocsparse_index_base_S1_PS1_PS2_lSA_.has_indirect_call, 0
	.section	.AMDGPU.csdata,"",@progbits
; Kernel info:
; codeLenInByte = 604
; TotalNumSgprs: 28
; NumVgprs: 18
; ScratchSize: 0
; MemoryBound: 0
; FloatMode: 240
; IeeeMode: 1
; LDSByteSize: 0 bytes/workgroup (compile time only)
; SGPRBlocks: 0
; VGPRBlocks: 1
; NumSGPRsForWavesPerEU: 28
; NumVGPRsForWavesPerEU: 18
; NamedBarCnt: 0
; Occupancy: 16
; WaveLimiterHint : 0
; COMPUTE_PGM_RSRC2:SCRATCH_EN: 0
; COMPUTE_PGM_RSRC2:USER_SGPR: 2
; COMPUTE_PGM_RSRC2:TRAP_HANDLER: 0
; COMPUTE_PGM_RSRC2:TGID_X_EN: 1
; COMPUTE_PGM_RSRC2:TGID_Y_EN: 1
; COMPUTE_PGM_RSRC2:TGID_Z_EN: 0
; COMPUTE_PGM_RSRC2:TIDIG_COMP_CNT: 0
	.section	.text._ZN9rocsparseL30csr2ell_strided_batched_kernelILj512E21rocsparse_complex_numIfEiiEEvT2_PKT0_lPKT1_PKS3_21rocsparse_index_base_S3_PS3_PS4_lSC_,"axG",@progbits,_ZN9rocsparseL30csr2ell_strided_batched_kernelILj512E21rocsparse_complex_numIfEiiEEvT2_PKT0_lPKT1_PKS3_21rocsparse_index_base_S3_PS3_PS4_lSC_,comdat
	.globl	_ZN9rocsparseL30csr2ell_strided_batched_kernelILj512E21rocsparse_complex_numIfEiiEEvT2_PKT0_lPKT1_PKS3_21rocsparse_index_base_S3_PS3_PS4_lSC_ ; -- Begin function _ZN9rocsparseL30csr2ell_strided_batched_kernelILj512E21rocsparse_complex_numIfEiiEEvT2_PKT0_lPKT1_PKS3_21rocsparse_index_base_S3_PS3_PS4_lSC_
	.p2align	8
	.type	_ZN9rocsparseL30csr2ell_strided_batched_kernelILj512E21rocsparse_complex_numIfEiiEEvT2_PKT0_lPKT1_PKS3_21rocsparse_index_base_S3_PS3_PS4_lSC_,@function
_ZN9rocsparseL30csr2ell_strided_batched_kernelILj512E21rocsparse_complex_numIfEiiEEvT2_PKT0_lPKT1_PKS3_21rocsparse_index_base_S3_PS3_PS4_lSC_: ; @_ZN9rocsparseL30csr2ell_strided_batched_kernelILj512E21rocsparse_complex_numIfEiiEEvT2_PKT0_lPKT1_PKS3_21rocsparse_index_base_S3_PS3_PS4_lSC_
; %bb.0:
	s_load_b32 s18, s[0:1], 0x0
	s_bfe_u32 s2, ttmp6, 0x4000c
	s_and_b32 s3, ttmp6, 15
	s_add_co_i32 s2, s2, 1
	s_getreg_b32 s16, hwreg(HW_REG_IB_STS2, 6, 4)
	s_mul_i32 s2, ttmp9, s2
	s_mov_b32 s17, 0
	s_add_co_i32 s3, s3, s2
	s_cmp_eq_u32 s16, 0
	s_cselect_b32 s2, ttmp9, s3
	s_delay_alu instid0(SALU_CYCLE_1) | instskip(SKIP_3) | instid1(VALU_DEP_1)
	s_lshl_b32 s19, s2, 9
	s_mov_b32 s2, exec_lo
	v_or_b32_e32 v2, s19, v0
	s_wait_kmcnt 0x0
	v_cmpx_gt_i32_e64 s18, v2
	s_cbranch_execz .LBB12_7
; %bb.1:
	s_load_b256 s[4:11], s[0:1], 0x8
	v_ashrrev_i32_e32 v3, 31, v2
	s_bfe_u32 s20, ttmp6, 0x40010
	s_bfe_u32 s21, ttmp6, 0x40004
	s_add_co_i32 s20, s20, 1
	s_delay_alu instid0(SALU_CYCLE_1) | instskip(NEXT) | instid1(SALU_CYCLE_1)
	s_mul_i32 s20, ttmp7, s20
	s_add_co_i32 s21, s21, s20
	s_cmp_eq_u32 s16, 0
	s_cselect_b32 s16, ttmp7, s21
	s_wait_kmcnt 0x0
	v_lshl_add_u64 v[4:5], v[2:3], 2, s[8:9]
	global_load_b64 v[6:7], v[4:5], off
	s_clause 0x2
	s_load_b64 s[8:9], s[0:1], 0x40
	s_load_b64 s[2:3], s[0:1], 0x28
	s_load_b128 s[12:15], s[0:1], 0x30
	s_wait_kmcnt 0x0
	s_mul_u64 s[8:9], s[8:9], s[16:17]
	s_delay_alu instid0(SALU_CYCLE_1)
	s_lshl_b64 s[8:9], s[8:9], 3
	s_cmp_gt_i32 s3, 0
	s_add_nc_u64 s[8:9], s[14:15], s[8:9]
	s_cselect_b32 s20, -1, 0
	s_wait_loadcnt 0x0
	v_cmp_lt_i32_e32 vcc_lo, v6, v7
	v_subrev_nc_u32_e32 v4, s2, v6
	v_subrev_nc_u32_e32 v1, s2, v7
	s_and_b32 s15, s20, vcc_lo
	s_delay_alu instid0(SALU_CYCLE_1)
	s_and_saveexec_b32 s14, s15
	s_cbranch_execz .LBB12_4
; %bb.2:
	s_load_b32 s15, s[0:1], 0x48
	s_wait_xcnt 0x0
	s_mul_u64 s[0:1], s[6:7], s[16:17]
	v_ashrrev_i32_e32 v5, 31, v4
	s_lshl_b64 s[0:1], s[0:1], 3
	s_delay_alu instid0(SALU_CYCLE_1) | instskip(NEXT) | instid1(VALU_DEP_1)
	s_add_nc_u64 s[0:1], s[4:5], s[0:1]
	v_lshl_add_u64 v[6:7], v[4:5], 2, s[10:11]
	v_lshl_add_u64 v[8:9], v[4:5], 3, s[0:1]
	s_mov_b32 s0, 1
	s_wait_kmcnt 0x0
	s_sub_co_i32 s1, s15, s2
	s_mov_b32 s2, 0
.LBB12_3:                               ; =>This Inner Loop Header: Depth=1
	global_load_b32 v3, v[6:7], off
	s_cmp_ge_i32 s0, s3
	s_wait_xcnt 0x0
	v_add_nc_u64_e32 v[6:7], 4, v[6:7]
	s_cselect_b32 s4, -1, 0
	s_wait_loadcnt 0x0
	v_add_nc_u32_e32 v3, s1, v3
	global_store_b32 v2, v3, s[12:13] scale_offset
	global_load_b64 v[10:11], v[8:9], off
	s_wait_xcnt 0x1
	v_add_nc_u32_e32 v3, s0, v4
	s_wait_xcnt 0x0
	v_add_nc_u64_e32 v[8:9], 8, v[8:9]
	s_add_co_i32 s0, s0, 1
	s_delay_alu instid0(VALU_DEP_2) | instskip(SKIP_1) | instid1(SALU_CYCLE_1)
	v_cmp_ge_i32_e32 vcc_lo, v3, v1
	s_or_b32 s4, vcc_lo, s4
	s_and_b32 s4, exec_lo, s4
	s_delay_alu instid0(SALU_CYCLE_1)
	s_or_b32 s2, s4, s2
	s_wait_loadcnt 0x0
	global_store_b64 v2, v[10:11], s[8:9] scale_offset
	s_wait_xcnt 0x0
	v_add_nc_u32_e32 v2, s18, v2
	s_and_not1_b32 exec_lo, exec_lo, s2
	s_cbranch_execnz .LBB12_3
.LBB12_4:
	s_or_b32 exec_lo, exec_lo, s14
	v_sub_nc_u32_e32 v1, v1, v4
	s_delay_alu instid0(VALU_DEP_1)
	v_cmp_gt_i32_e32 vcc_lo, s3, v1
	s_and_b32 exec_lo, exec_lo, vcc_lo
	s_cbranch_execz .LBB12_7
; %bb.5:
	v_mul_lo_u32 v4, s18, v1
	v_mov_b64_e32 v[2:3], 0
	s_mov_b32 s0, 0
	s_delay_alu instid0(VALU_DEP_2)
	v_add3_u32 v0, v0, v4, s19
	v_mov_b32_e32 v4, -1
.LBB12_6:                               ; =>This Inner Loop Header: Depth=1
	v_add_nc_u32_e32 v1, 1, v1
	s_clause 0x1
	global_store_b32 v0, v4, s[12:13] scale_offset
	global_store_b64 v0, v[2:3], s[8:9] scale_offset
	s_wait_xcnt 0x0
	v_add_nc_u32_e32 v0, s18, v0
	v_cmp_le_i32_e32 vcc_lo, s3, v1
	s_or_b32 s0, vcc_lo, s0
	s_delay_alu instid0(SALU_CYCLE_1)
	s_and_not1_b32 exec_lo, exec_lo, s0
	s_cbranch_execnz .LBB12_6
.LBB12_7:
	s_endpgm
	.section	.rodata,"a",@progbits
	.p2align	6, 0x0
	.amdhsa_kernel _ZN9rocsparseL30csr2ell_strided_batched_kernelILj512E21rocsparse_complex_numIfEiiEEvT2_PKT0_lPKT1_PKS3_21rocsparse_index_base_S3_PS3_PS4_lSC_
		.amdhsa_group_segment_fixed_size 0
		.amdhsa_private_segment_fixed_size 0
		.amdhsa_kernarg_size 76
		.amdhsa_user_sgpr_count 2
		.amdhsa_user_sgpr_dispatch_ptr 0
		.amdhsa_user_sgpr_queue_ptr 0
		.amdhsa_user_sgpr_kernarg_segment_ptr 1
		.amdhsa_user_sgpr_dispatch_id 0
		.amdhsa_user_sgpr_kernarg_preload_length 0
		.amdhsa_user_sgpr_kernarg_preload_offset 0
		.amdhsa_user_sgpr_private_segment_size 0
		.amdhsa_wavefront_size32 1
		.amdhsa_uses_dynamic_stack 0
		.amdhsa_enable_private_segment 0
		.amdhsa_system_sgpr_workgroup_id_x 1
		.amdhsa_system_sgpr_workgroup_id_y 1
		.amdhsa_system_sgpr_workgroup_id_z 0
		.amdhsa_system_sgpr_workgroup_info 0
		.amdhsa_system_vgpr_workitem_id 0
		.amdhsa_next_free_vgpr 12
		.amdhsa_next_free_sgpr 22
		.amdhsa_named_barrier_count 0
		.amdhsa_reserve_vcc 1
		.amdhsa_float_round_mode_32 0
		.amdhsa_float_round_mode_16_64 0
		.amdhsa_float_denorm_mode_32 3
		.amdhsa_float_denorm_mode_16_64 3
		.amdhsa_fp16_overflow 0
		.amdhsa_memory_ordered 1
		.amdhsa_forward_progress 1
		.amdhsa_inst_pref_size 5
		.amdhsa_round_robin_scheduling 0
		.amdhsa_exception_fp_ieee_invalid_op 0
		.amdhsa_exception_fp_denorm_src 0
		.amdhsa_exception_fp_ieee_div_zero 0
		.amdhsa_exception_fp_ieee_overflow 0
		.amdhsa_exception_fp_ieee_underflow 0
		.amdhsa_exception_fp_ieee_inexact 0
		.amdhsa_exception_int_div_zero 0
	.end_amdhsa_kernel
	.section	.text._ZN9rocsparseL30csr2ell_strided_batched_kernelILj512E21rocsparse_complex_numIfEiiEEvT2_PKT0_lPKT1_PKS3_21rocsparse_index_base_S3_PS3_PS4_lSC_,"axG",@progbits,_ZN9rocsparseL30csr2ell_strided_batched_kernelILj512E21rocsparse_complex_numIfEiiEEvT2_PKT0_lPKT1_PKS3_21rocsparse_index_base_S3_PS3_PS4_lSC_,comdat
.Lfunc_end12:
	.size	_ZN9rocsparseL30csr2ell_strided_batched_kernelILj512E21rocsparse_complex_numIfEiiEEvT2_PKT0_lPKT1_PKS3_21rocsparse_index_base_S3_PS3_PS4_lSC_, .Lfunc_end12-_ZN9rocsparseL30csr2ell_strided_batched_kernelILj512E21rocsparse_complex_numIfEiiEEvT2_PKT0_lPKT1_PKS3_21rocsparse_index_base_S3_PS3_PS4_lSC_
                                        ; -- End function
	.set _ZN9rocsparseL30csr2ell_strided_batched_kernelILj512E21rocsparse_complex_numIfEiiEEvT2_PKT0_lPKT1_PKS3_21rocsparse_index_base_S3_PS3_PS4_lSC_.num_vgpr, 12
	.set _ZN9rocsparseL30csr2ell_strided_batched_kernelILj512E21rocsparse_complex_numIfEiiEEvT2_PKT0_lPKT1_PKS3_21rocsparse_index_base_S3_PS3_PS4_lSC_.num_agpr, 0
	.set _ZN9rocsparseL30csr2ell_strided_batched_kernelILj512E21rocsparse_complex_numIfEiiEEvT2_PKT0_lPKT1_PKS3_21rocsparse_index_base_S3_PS3_PS4_lSC_.numbered_sgpr, 22
	.set _ZN9rocsparseL30csr2ell_strided_batched_kernelILj512E21rocsparse_complex_numIfEiiEEvT2_PKT0_lPKT1_PKS3_21rocsparse_index_base_S3_PS3_PS4_lSC_.num_named_barrier, 0
	.set _ZN9rocsparseL30csr2ell_strided_batched_kernelILj512E21rocsparse_complex_numIfEiiEEvT2_PKT0_lPKT1_PKS3_21rocsparse_index_base_S3_PS3_PS4_lSC_.private_seg_size, 0
	.set _ZN9rocsparseL30csr2ell_strided_batched_kernelILj512E21rocsparse_complex_numIfEiiEEvT2_PKT0_lPKT1_PKS3_21rocsparse_index_base_S3_PS3_PS4_lSC_.uses_vcc, 1
	.set _ZN9rocsparseL30csr2ell_strided_batched_kernelILj512E21rocsparse_complex_numIfEiiEEvT2_PKT0_lPKT1_PKS3_21rocsparse_index_base_S3_PS3_PS4_lSC_.uses_flat_scratch, 0
	.set _ZN9rocsparseL30csr2ell_strided_batched_kernelILj512E21rocsparse_complex_numIfEiiEEvT2_PKT0_lPKT1_PKS3_21rocsparse_index_base_S3_PS3_PS4_lSC_.has_dyn_sized_stack, 0
	.set _ZN9rocsparseL30csr2ell_strided_batched_kernelILj512E21rocsparse_complex_numIfEiiEEvT2_PKT0_lPKT1_PKS3_21rocsparse_index_base_S3_PS3_PS4_lSC_.has_recursion, 0
	.set _ZN9rocsparseL30csr2ell_strided_batched_kernelILj512E21rocsparse_complex_numIfEiiEEvT2_PKT0_lPKT1_PKS3_21rocsparse_index_base_S3_PS3_PS4_lSC_.has_indirect_call, 0
	.section	.AMDGPU.csdata,"",@progbits
; Kernel info:
; codeLenInByte = 564
; TotalNumSgprs: 24
; NumVgprs: 12
; ScratchSize: 0
; MemoryBound: 0
; FloatMode: 240
; IeeeMode: 1
; LDSByteSize: 0 bytes/workgroup (compile time only)
; SGPRBlocks: 0
; VGPRBlocks: 0
; NumSGPRsForWavesPerEU: 24
; NumVGPRsForWavesPerEU: 12
; NamedBarCnt: 0
; Occupancy: 16
; WaveLimiterHint : 0
; COMPUTE_PGM_RSRC2:SCRATCH_EN: 0
; COMPUTE_PGM_RSRC2:USER_SGPR: 2
; COMPUTE_PGM_RSRC2:TRAP_HANDLER: 0
; COMPUTE_PGM_RSRC2:TGID_X_EN: 1
; COMPUTE_PGM_RSRC2:TGID_Y_EN: 1
; COMPUTE_PGM_RSRC2:TGID_Z_EN: 0
; COMPUTE_PGM_RSRC2:TIDIG_COMP_CNT: 0
	.section	.text._ZN9rocsparseL30csr2ell_strided_batched_kernelILj512E21rocsparse_complex_numIfEliEEvT2_PKT0_lPKT1_PKS3_21rocsparse_index_base_S3_PS3_PS4_lSC_,"axG",@progbits,_ZN9rocsparseL30csr2ell_strided_batched_kernelILj512E21rocsparse_complex_numIfEliEEvT2_PKT0_lPKT1_PKS3_21rocsparse_index_base_S3_PS3_PS4_lSC_,comdat
	.globl	_ZN9rocsparseL30csr2ell_strided_batched_kernelILj512E21rocsparse_complex_numIfEliEEvT2_PKT0_lPKT1_PKS3_21rocsparse_index_base_S3_PS3_PS4_lSC_ ; -- Begin function _ZN9rocsparseL30csr2ell_strided_batched_kernelILj512E21rocsparse_complex_numIfEliEEvT2_PKT0_lPKT1_PKS3_21rocsparse_index_base_S3_PS3_PS4_lSC_
	.p2align	8
	.type	_ZN9rocsparseL30csr2ell_strided_batched_kernelILj512E21rocsparse_complex_numIfEliEEvT2_PKT0_lPKT1_PKS3_21rocsparse_index_base_S3_PS3_PS4_lSC_,@function
_ZN9rocsparseL30csr2ell_strided_batched_kernelILj512E21rocsparse_complex_numIfEliEEvT2_PKT0_lPKT1_PKS3_21rocsparse_index_base_S3_PS3_PS4_lSC_: ; @_ZN9rocsparseL30csr2ell_strided_batched_kernelILj512E21rocsparse_complex_numIfEliEEvT2_PKT0_lPKT1_PKS3_21rocsparse_index_base_S3_PS3_PS4_lSC_
; %bb.0:
	s_load_b32 s18, s[0:1], 0x0
	s_bfe_u32 s2, ttmp6, 0x4000c
	s_and_b32 s3, ttmp6, 15
	s_add_co_i32 s2, s2, 1
	s_getreg_b32 s16, hwreg(HW_REG_IB_STS2, 6, 4)
	s_mul_i32 s2, ttmp9, s2
	s_mov_b32 s17, 0
	s_add_co_i32 s3, s3, s2
	s_cmp_eq_u32 s16, 0
	s_cselect_b32 s2, ttmp9, s3
	s_delay_alu instid0(SALU_CYCLE_1) | instskip(SKIP_3) | instid1(VALU_DEP_1)
	s_lshl_b32 s19, s2, 9
	s_mov_b32 s2, exec_lo
	v_or_b32_e32 v6, s19, v0
	s_wait_kmcnt 0x0
	v_cmpx_gt_i32_e64 s18, v6
	s_cbranch_execz .LBB13_7
; %bb.1:
	s_load_b256 s[4:11], s[0:1], 0x8
	v_ashrrev_i32_e32 v7, 31, v6
	s_mov_b32 s21, s17
	s_bfe_u32 s22, ttmp6, 0x40010
	s_bfe_u32 s23, ttmp6, 0x40004
	s_add_co_i32 s22, s22, 1
	s_delay_alu instid0(SALU_CYCLE_1) | instskip(NEXT) | instid1(SALU_CYCLE_1)
	s_mul_i32 s22, ttmp7, s22
	s_add_co_i32 s23, s23, s22
	s_cmp_eq_u32 s16, 0
	s_cselect_b32 s16, ttmp7, s23
	s_wait_kmcnt 0x0
	v_lshl_add_u64 v[2:3], v[6:7], 3, s[8:9]
	global_load_b128 v[2:5], v[2:3], off
	s_clause 0x2
	s_load_b64 s[2:3], s[0:1], 0x28
	s_load_b64 s[8:9], s[0:1], 0x40
	s_load_b128 s[12:15], s[0:1], 0x30
	s_wait_kmcnt 0x0
	s_mov_b32 s20, s2
	s_mul_u64 s[8:9], s[8:9], s[16:17]
	s_delay_alu instid0(SALU_CYCLE_1)
	s_lshl_b64 s[8:9], s[8:9], 3
	s_cmp_gt_i32 s3, 0
	s_add_nc_u64 s[8:9], s[14:15], s[8:9]
	s_wait_loadcnt 0x0
	v_sub_nc_u64_e64 v[8:9], v[2:3], s[20:21]
	v_sub_nc_u64_e64 v[4:5], v[4:5], s[20:21]
	s_cselect_b32 s20, -1, 0
	s_delay_alu instid0(VALU_DEP_2) | instskip(NEXT) | instid1(VALU_DEP_1)
	v_ashrrev_i32_e32 v9, 31, v8
	v_cmp_gt_i64_e32 vcc_lo, v[4:5], v[8:9]
	s_and_b32 s15, s20, vcc_lo
	s_delay_alu instid0(SALU_CYCLE_1)
	s_and_saveexec_b32 s14, s15
	s_cbranch_execz .LBB13_4
; %bb.2:
	s_load_b32 s15, s[0:1], 0x48
	v_subrev_nc_u32_e32 v1, s2, v2
	v_mov_b64_e32 v[10:11], v[8:9]
	s_wait_xcnt 0x0
	s_mul_u64 s[0:1], s[6:7], s[16:17]
	s_mov_b64 s[6:7], 0
	s_lshl_b64 s[0:1], s[0:1], 3
	v_dual_mov_b32 v1, v8 :: v_dual_add_nc_u32 v2, 1, v1
	s_add_nc_u64 s[0:1], s[4:5], s[0:1]
	s_mov_b32 s4, 0
	s_delay_alu instid0(VALU_DEP_1)
	v_ashrrev_i32_e32 v3, 31, v2
	s_wait_kmcnt 0x0
	s_sub_co_i32 s2, s15, s2
.LBB13_3:                               ; =>This Inner Loop Header: Depth=1
	v_lshl_add_u64 v[12:13], v[10:11], 2, s[10:11]
	v_lshl_add_u64 v[10:11], v[10:11], 3, s[0:1]
	v_add_nc_u64_e32 v[14:15], s[6:7], v[2:3]
	s_add_nc_u64 s[6:7], s[6:7], 1
	s_delay_alu instid0(SALU_CYCLE_1) | instskip(SKIP_4) | instid1(SALU_CYCLE_1)
	s_cmp_ge_i32 s6, s3
	global_load_b32 v7, v[12:13], off
	s_cselect_b32 s5, -1, 0
	v_cmp_le_i64_e32 vcc_lo, v[4:5], v[14:15]
	s_or_b32 s5, vcc_lo, s5
	s_and_b32 s5, exec_lo, s5
	s_delay_alu instid0(SALU_CYCLE_1)
	s_or_b32 s4, s5, s4
	s_wait_loadcnt 0x0
	v_add_nc_u32_e32 v7, s2, v7
	global_store_b32 v6, v7, s[12:13] scale_offset
	global_load_b64 v[12:13], v[10:11], off
	s_wait_xcnt 0x0
	v_add_nc_u32_e32 v10, 1, v1
	s_delay_alu instid0(VALU_DEP_1)
	v_dual_ashrrev_i32 v11, 31, v10 :: v_dual_mov_b32 v1, v10
	s_wait_loadcnt 0x0
	global_store_b64 v6, v[12:13], s[8:9] scale_offset
	s_wait_xcnt 0x0
	v_add_nc_u32_e32 v6, s18, v6
	s_and_not1_b32 exec_lo, exec_lo, s4
	s_cbranch_execnz .LBB13_3
.LBB13_4:
	s_or_b32 exec_lo, exec_lo, s14
	v_sub_nc_u32_e32 v1, v4, v8
	s_delay_alu instid0(VALU_DEP_1)
	v_cmp_gt_i32_e32 vcc_lo, s3, v1
	s_and_b32 exec_lo, exec_lo, vcc_lo
	s_cbranch_execz .LBB13_7
; %bb.5:
	v_mul_lo_u32 v4, s18, v1
	v_mov_b64_e32 v[2:3], 0
	s_mov_b32 s0, 0
	s_delay_alu instid0(VALU_DEP_2)
	v_add3_u32 v0, v0, v4, s19
	v_mov_b32_e32 v4, -1
.LBB13_6:                               ; =>This Inner Loop Header: Depth=1
	v_add_nc_u32_e32 v1, 1, v1
	s_clause 0x1
	global_store_b32 v0, v4, s[12:13] scale_offset
	global_store_b64 v0, v[2:3], s[8:9] scale_offset
	s_wait_xcnt 0x0
	v_add_nc_u32_e32 v0, s18, v0
	v_cmp_le_i32_e32 vcc_lo, s3, v1
	s_or_b32 s0, vcc_lo, s0
	s_delay_alu instid0(SALU_CYCLE_1)
	s_and_not1_b32 exec_lo, exec_lo, s0
	s_cbranch_execnz .LBB13_6
.LBB13_7:
	s_endpgm
	.section	.rodata,"a",@progbits
	.p2align	6, 0x0
	.amdhsa_kernel _ZN9rocsparseL30csr2ell_strided_batched_kernelILj512E21rocsparse_complex_numIfEliEEvT2_PKT0_lPKT1_PKS3_21rocsparse_index_base_S3_PS3_PS4_lSC_
		.amdhsa_group_segment_fixed_size 0
		.amdhsa_private_segment_fixed_size 0
		.amdhsa_kernarg_size 76
		.amdhsa_user_sgpr_count 2
		.amdhsa_user_sgpr_dispatch_ptr 0
		.amdhsa_user_sgpr_queue_ptr 0
		.amdhsa_user_sgpr_kernarg_segment_ptr 1
		.amdhsa_user_sgpr_dispatch_id 0
		.amdhsa_user_sgpr_kernarg_preload_length 0
		.amdhsa_user_sgpr_kernarg_preload_offset 0
		.amdhsa_user_sgpr_private_segment_size 0
		.amdhsa_wavefront_size32 1
		.amdhsa_uses_dynamic_stack 0
		.amdhsa_enable_private_segment 0
		.amdhsa_system_sgpr_workgroup_id_x 1
		.amdhsa_system_sgpr_workgroup_id_y 1
		.amdhsa_system_sgpr_workgroup_id_z 0
		.amdhsa_system_sgpr_workgroup_info 0
		.amdhsa_system_vgpr_workitem_id 0
		.amdhsa_next_free_vgpr 16
		.amdhsa_next_free_sgpr 24
		.amdhsa_named_barrier_count 0
		.amdhsa_reserve_vcc 1
		.amdhsa_float_round_mode_32 0
		.amdhsa_float_round_mode_16_64 0
		.amdhsa_float_denorm_mode_32 3
		.amdhsa_float_denorm_mode_16_64 3
		.amdhsa_fp16_overflow 0
		.amdhsa_memory_ordered 1
		.amdhsa_forward_progress 1
		.amdhsa_inst_pref_size 5
		.amdhsa_round_robin_scheduling 0
		.amdhsa_exception_fp_ieee_invalid_op 0
		.amdhsa_exception_fp_denorm_src 0
		.amdhsa_exception_fp_ieee_div_zero 0
		.amdhsa_exception_fp_ieee_overflow 0
		.amdhsa_exception_fp_ieee_underflow 0
		.amdhsa_exception_fp_ieee_inexact 0
		.amdhsa_exception_int_div_zero 0
	.end_amdhsa_kernel
	.section	.text._ZN9rocsparseL30csr2ell_strided_batched_kernelILj512E21rocsparse_complex_numIfEliEEvT2_PKT0_lPKT1_PKS3_21rocsparse_index_base_S3_PS3_PS4_lSC_,"axG",@progbits,_ZN9rocsparseL30csr2ell_strided_batched_kernelILj512E21rocsparse_complex_numIfEliEEvT2_PKT0_lPKT1_PKS3_21rocsparse_index_base_S3_PS3_PS4_lSC_,comdat
.Lfunc_end13:
	.size	_ZN9rocsparseL30csr2ell_strided_batched_kernelILj512E21rocsparse_complex_numIfEliEEvT2_PKT0_lPKT1_PKS3_21rocsparse_index_base_S3_PS3_PS4_lSC_, .Lfunc_end13-_ZN9rocsparseL30csr2ell_strided_batched_kernelILj512E21rocsparse_complex_numIfEliEEvT2_PKT0_lPKT1_PKS3_21rocsparse_index_base_S3_PS3_PS4_lSC_
                                        ; -- End function
	.set _ZN9rocsparseL30csr2ell_strided_batched_kernelILj512E21rocsparse_complex_numIfEliEEvT2_PKT0_lPKT1_PKS3_21rocsparse_index_base_S3_PS3_PS4_lSC_.num_vgpr, 16
	.set _ZN9rocsparseL30csr2ell_strided_batched_kernelILj512E21rocsparse_complex_numIfEliEEvT2_PKT0_lPKT1_PKS3_21rocsparse_index_base_S3_PS3_PS4_lSC_.num_agpr, 0
	.set _ZN9rocsparseL30csr2ell_strided_batched_kernelILj512E21rocsparse_complex_numIfEliEEvT2_PKT0_lPKT1_PKS3_21rocsparse_index_base_S3_PS3_PS4_lSC_.numbered_sgpr, 24
	.set _ZN9rocsparseL30csr2ell_strided_batched_kernelILj512E21rocsparse_complex_numIfEliEEvT2_PKT0_lPKT1_PKS3_21rocsparse_index_base_S3_PS3_PS4_lSC_.num_named_barrier, 0
	.set _ZN9rocsparseL30csr2ell_strided_batched_kernelILj512E21rocsparse_complex_numIfEliEEvT2_PKT0_lPKT1_PKS3_21rocsparse_index_base_S3_PS3_PS4_lSC_.private_seg_size, 0
	.set _ZN9rocsparseL30csr2ell_strided_batched_kernelILj512E21rocsparse_complex_numIfEliEEvT2_PKT0_lPKT1_PKS3_21rocsparse_index_base_S3_PS3_PS4_lSC_.uses_vcc, 1
	.set _ZN9rocsparseL30csr2ell_strided_batched_kernelILj512E21rocsparse_complex_numIfEliEEvT2_PKT0_lPKT1_PKS3_21rocsparse_index_base_S3_PS3_PS4_lSC_.uses_flat_scratch, 0
	.set _ZN9rocsparseL30csr2ell_strided_batched_kernelILj512E21rocsparse_complex_numIfEliEEvT2_PKT0_lPKT1_PKS3_21rocsparse_index_base_S3_PS3_PS4_lSC_.has_dyn_sized_stack, 0
	.set _ZN9rocsparseL30csr2ell_strided_batched_kernelILj512E21rocsparse_complex_numIfEliEEvT2_PKT0_lPKT1_PKS3_21rocsparse_index_base_S3_PS3_PS4_lSC_.has_recursion, 0
	.set _ZN9rocsparseL30csr2ell_strided_batched_kernelILj512E21rocsparse_complex_numIfEliEEvT2_PKT0_lPKT1_PKS3_21rocsparse_index_base_S3_PS3_PS4_lSC_.has_indirect_call, 0
	.section	.AMDGPU.csdata,"",@progbits
; Kernel info:
; codeLenInByte = 608
; TotalNumSgprs: 26
; NumVgprs: 16
; ScratchSize: 0
; MemoryBound: 0
; FloatMode: 240
; IeeeMode: 1
; LDSByteSize: 0 bytes/workgroup (compile time only)
; SGPRBlocks: 0
; VGPRBlocks: 0
; NumSGPRsForWavesPerEU: 26
; NumVGPRsForWavesPerEU: 16
; NamedBarCnt: 0
; Occupancy: 16
; WaveLimiterHint : 0
; COMPUTE_PGM_RSRC2:SCRATCH_EN: 0
; COMPUTE_PGM_RSRC2:USER_SGPR: 2
; COMPUTE_PGM_RSRC2:TRAP_HANDLER: 0
; COMPUTE_PGM_RSRC2:TGID_X_EN: 1
; COMPUTE_PGM_RSRC2:TGID_Y_EN: 1
; COMPUTE_PGM_RSRC2:TGID_Z_EN: 0
; COMPUTE_PGM_RSRC2:TIDIG_COMP_CNT: 0
	.section	.text._ZN9rocsparseL30csr2ell_strided_batched_kernelILj512E21rocsparse_complex_numIfEilEEvT2_PKT0_lPKT1_PKS3_21rocsparse_index_base_S3_PS3_PS4_lSC_,"axG",@progbits,_ZN9rocsparseL30csr2ell_strided_batched_kernelILj512E21rocsparse_complex_numIfEilEEvT2_PKT0_lPKT1_PKS3_21rocsparse_index_base_S3_PS3_PS4_lSC_,comdat
	.globl	_ZN9rocsparseL30csr2ell_strided_batched_kernelILj512E21rocsparse_complex_numIfEilEEvT2_PKT0_lPKT1_PKS3_21rocsparse_index_base_S3_PS3_PS4_lSC_ ; -- Begin function _ZN9rocsparseL30csr2ell_strided_batched_kernelILj512E21rocsparse_complex_numIfEilEEvT2_PKT0_lPKT1_PKS3_21rocsparse_index_base_S3_PS3_PS4_lSC_
	.p2align	8
	.type	_ZN9rocsparseL30csr2ell_strided_batched_kernelILj512E21rocsparse_complex_numIfEilEEvT2_PKT0_lPKT1_PKS3_21rocsparse_index_base_S3_PS3_PS4_lSC_,@function
_ZN9rocsparseL30csr2ell_strided_batched_kernelILj512E21rocsparse_complex_numIfEilEEvT2_PKT0_lPKT1_PKS3_21rocsparse_index_base_S3_PS3_PS4_lSC_: ; @_ZN9rocsparseL30csr2ell_strided_batched_kernelILj512E21rocsparse_complex_numIfEilEEvT2_PKT0_lPKT1_PKS3_21rocsparse_index_base_S3_PS3_PS4_lSC_
; %bb.0:
	s_load_b256 s[4:11], s[0:1], 0x0
	s_bfe_u32 s2, ttmp6, 0x4000c
	s_and_b32 s3, ttmp6, 15
	s_add_co_i32 s2, s2, 1
	s_mov_b32 s25, 0
	s_mul_i32 s12, ttmp9, s2
	s_getreg_b32 s2, hwreg(HW_REG_IB_STS2, 6, 4)
	s_add_co_i32 s3, s3, s12
	s_cmp_eq_u32 s2, 0
	v_mov_b32_e32 v3, 0
	s_cselect_b32 s3, ttmp9, s3
	s_delay_alu instid0(SALU_CYCLE_1) | instskip(SKIP_3) | instid1(VALU_DEP_1)
	s_lshl_b32 s23, s3, 9
	s_mov_b32 s3, exec_lo
	v_or_b32_e32 v2, s23, v0
	s_wait_kmcnt 0x0
	v_cmpx_gt_i64_e64 s[4:5], v[2:3]
	s_cbranch_execz .LBB14_7
; %bb.1:
	v_lshl_add_u64 v[4:5], v[2:3], 2, s[10:11]
	s_bfe_u32 s3, ttmp6, 0x40010
	s_bfe_u32 s5, ttmp6, 0x40004
	s_add_co_i32 s3, s3, 1
	s_delay_alu instid0(SALU_CYCLE_1)
	s_mul_i32 s3, ttmp7, s3
	global_load_b64 v[4:5], v[4:5], off
	s_clause 0x1
	s_load_b256 s[12:19], s[0:1], 0x30
	s_load_b96 s[20:22], s[0:1], 0x20
	s_add_co_i32 s5, s5, s3
	s_cmp_eq_u32 s2, 0
	s_cselect_b32 s24, ttmp7, s5
	s_wait_kmcnt 0x0
	v_cmp_gt_i64_e64 s5, s[12:13], 0
	s_mul_u64 s[2:3], s[18:19], s[24:25]
	s_delay_alu instid0(SALU_CYCLE_1) | instskip(NEXT) | instid1(SALU_CYCLE_1)
	s_lshl_b64 s[2:3], s[2:3], 3
	s_add_nc_u64 s[2:3], s[16:17], s[2:3]
	s_wait_loadcnt 0x0
	v_cmp_lt_i32_e32 vcc_lo, v4, v5
	v_subrev_nc_u32_e32 v4, s22, v4
	v_subrev_nc_u32_e32 v1, s22, v5
	s_and_b32 s10, s5, vcc_lo
	s_delay_alu instid0(SALU_CYCLE_1)
	s_and_saveexec_b32 s5, s10
	s_cbranch_execz .LBB14_4
; %bb.2:
	s_load_b32 s0, s[0:1], 0x50
	v_ashrrev_i32_e32 v5, 31, v4
	s_mul_u64 s[8:9], s[8:9], s[24:25]
	s_wait_xcnt 0x0
	s_mov_b32 s1, 0
	s_lshl_b64 s[8:9], s[8:9], 3
	v_lshlrev_b64_e32 v[8:9], 3, v[4:5]
	s_add_nc_u64 s[6:7], s[6:7], s[8:9]
	s_mov_b64 s[8:9], 1
	s_delay_alu instid0(VALU_DEP_1)
	v_add_nc_u64_e32 v[6:7], s[20:21], v[8:9]
	v_add_nc_u64_e32 v[8:9], s[6:7], v[8:9]
	s_mov_b32 s6, s22
	s_mov_b32 s7, s1
	s_wait_kmcnt 0x0
	s_sub_nc_u64 s[6:7], s[0:1], s[6:7]
.LBB14_3:                               ; =>This Inner Loop Header: Depth=1
	global_load_b64 v[10:11], v[6:7], off
	v_add_nc_u32_e32 v3, s8, v4
	v_cmp_ge_i64_e64 s0, s[8:9], s[12:13]
	s_wait_xcnt 0x0
	v_add_nc_u64_e32 v[6:7], 8, v[6:7]
	s_add_nc_u64 s[8:9], s[8:9], 1
	s_wait_loadcnt 0x0
	v_add_nc_u64_e32 v[10:11], s[6:7], v[10:11]
	global_store_b64 v2, v[10:11], s[14:15] scale_offset
	global_load_b64 v[10:11], v[8:9], off
	s_wait_xcnt 0x0
	v_add_nc_u64_e32 v[8:9], 8, v[8:9]
	s_wait_loadcnt 0x0
	global_store_b64 v2, v[10:11], s[2:3] scale_offset
	s_wait_xcnt 0x0
	v_add_nc_u32_e32 v2, s4, v2
	v_cmp_ge_i32_e32 vcc_lo, v3, v1
	s_or_b32 s0, vcc_lo, s0
	s_delay_alu instid0(SALU_CYCLE_1) | instskip(NEXT) | instid1(SALU_CYCLE_1)
	s_and_b32 s0, exec_lo, s0
	s_or_b32 s1, s0, s1
	s_delay_alu instid0(SALU_CYCLE_1)
	s_and_not1_b32 exec_lo, exec_lo, s1
	s_cbranch_execnz .LBB14_3
.LBB14_4:
	s_or_b32 exec_lo, exec_lo, s5
	v_sub_nc_u32_e32 v2, v1, v4
	s_delay_alu instid0(VALU_DEP_1) | instskip(NEXT) | instid1(VALU_DEP_1)
	v_ashrrev_i32_e32 v3, 31, v2
	v_cmp_gt_i64_e32 vcc_lo, s[12:13], v[2:3]
	s_and_b32 exec_lo, exec_lo, vcc_lo
	s_cbranch_execz .LBB14_7
; %bb.5:
	v_mul_lo_u32 v1, v2, s4
	v_mov_b64_e32 v[4:5], -1
	v_mov_b64_e32 v[6:7], 0
	s_mov_b32 s0, 0
	s_delay_alu instid0(VALU_DEP_3)
	v_add3_u32 v0, v0, v1, s23
.LBB14_6:                               ; =>This Inner Loop Header: Depth=1
	v_add_nc_u64_e32 v[2:3], 1, v[2:3]
	s_clause 0x1
	global_store_b64 v0, v[4:5], s[14:15] scale_offset
	global_store_b64 v0, v[6:7], s[2:3] scale_offset
	s_wait_xcnt 0x0
	v_add_nc_u32_e32 v0, s4, v0
	v_cmp_le_i64_e32 vcc_lo, s[12:13], v[2:3]
	s_or_b32 s0, vcc_lo, s0
	s_delay_alu instid0(SALU_CYCLE_1)
	s_and_not1_b32 exec_lo, exec_lo, s0
	s_cbranch_execnz .LBB14_6
.LBB14_7:
	s_endpgm
	.section	.rodata,"a",@progbits
	.p2align	6, 0x0
	.amdhsa_kernel _ZN9rocsparseL30csr2ell_strided_batched_kernelILj512E21rocsparse_complex_numIfEilEEvT2_PKT0_lPKT1_PKS3_21rocsparse_index_base_S3_PS3_PS4_lSC_
		.amdhsa_group_segment_fixed_size 0
		.amdhsa_private_segment_fixed_size 0
		.amdhsa_kernarg_size 84
		.amdhsa_user_sgpr_count 2
		.amdhsa_user_sgpr_dispatch_ptr 0
		.amdhsa_user_sgpr_queue_ptr 0
		.amdhsa_user_sgpr_kernarg_segment_ptr 1
		.amdhsa_user_sgpr_dispatch_id 0
		.amdhsa_user_sgpr_kernarg_preload_length 0
		.amdhsa_user_sgpr_kernarg_preload_offset 0
		.amdhsa_user_sgpr_private_segment_size 0
		.amdhsa_wavefront_size32 1
		.amdhsa_uses_dynamic_stack 0
		.amdhsa_enable_private_segment 0
		.amdhsa_system_sgpr_workgroup_id_x 1
		.amdhsa_system_sgpr_workgroup_id_y 1
		.amdhsa_system_sgpr_workgroup_id_z 0
		.amdhsa_system_sgpr_workgroup_info 0
		.amdhsa_system_vgpr_workitem_id 0
		.amdhsa_next_free_vgpr 12
		.amdhsa_next_free_sgpr 26
		.amdhsa_named_barrier_count 0
		.amdhsa_reserve_vcc 1
		.amdhsa_float_round_mode_32 0
		.amdhsa_float_round_mode_16_64 0
		.amdhsa_float_denorm_mode_32 3
		.amdhsa_float_denorm_mode_16_64 3
		.amdhsa_fp16_overflow 0
		.amdhsa_memory_ordered 1
		.amdhsa_forward_progress 1
		.amdhsa_inst_pref_size 5
		.amdhsa_round_robin_scheduling 0
		.amdhsa_exception_fp_ieee_invalid_op 0
		.amdhsa_exception_fp_denorm_src 0
		.amdhsa_exception_fp_ieee_div_zero 0
		.amdhsa_exception_fp_ieee_overflow 0
		.amdhsa_exception_fp_ieee_underflow 0
		.amdhsa_exception_fp_ieee_inexact 0
		.amdhsa_exception_int_div_zero 0
	.end_amdhsa_kernel
	.section	.text._ZN9rocsparseL30csr2ell_strided_batched_kernelILj512E21rocsparse_complex_numIfEilEEvT2_PKT0_lPKT1_PKS3_21rocsparse_index_base_S3_PS3_PS4_lSC_,"axG",@progbits,_ZN9rocsparseL30csr2ell_strided_batched_kernelILj512E21rocsparse_complex_numIfEilEEvT2_PKT0_lPKT1_PKS3_21rocsparse_index_base_S3_PS3_PS4_lSC_,comdat
.Lfunc_end14:
	.size	_ZN9rocsparseL30csr2ell_strided_batched_kernelILj512E21rocsparse_complex_numIfEilEEvT2_PKT0_lPKT1_PKS3_21rocsparse_index_base_S3_PS3_PS4_lSC_, .Lfunc_end14-_ZN9rocsparseL30csr2ell_strided_batched_kernelILj512E21rocsparse_complex_numIfEilEEvT2_PKT0_lPKT1_PKS3_21rocsparse_index_base_S3_PS3_PS4_lSC_
                                        ; -- End function
	.set _ZN9rocsparseL30csr2ell_strided_batched_kernelILj512E21rocsparse_complex_numIfEilEEvT2_PKT0_lPKT1_PKS3_21rocsparse_index_base_S3_PS3_PS4_lSC_.num_vgpr, 12
	.set _ZN9rocsparseL30csr2ell_strided_batched_kernelILj512E21rocsparse_complex_numIfEilEEvT2_PKT0_lPKT1_PKS3_21rocsparse_index_base_S3_PS3_PS4_lSC_.num_agpr, 0
	.set _ZN9rocsparseL30csr2ell_strided_batched_kernelILj512E21rocsparse_complex_numIfEilEEvT2_PKT0_lPKT1_PKS3_21rocsparse_index_base_S3_PS3_PS4_lSC_.numbered_sgpr, 26
	.set _ZN9rocsparseL30csr2ell_strided_batched_kernelILj512E21rocsparse_complex_numIfEilEEvT2_PKT0_lPKT1_PKS3_21rocsparse_index_base_S3_PS3_PS4_lSC_.num_named_barrier, 0
	.set _ZN9rocsparseL30csr2ell_strided_batched_kernelILj512E21rocsparse_complex_numIfEilEEvT2_PKT0_lPKT1_PKS3_21rocsparse_index_base_S3_PS3_PS4_lSC_.private_seg_size, 0
	.set _ZN9rocsparseL30csr2ell_strided_batched_kernelILj512E21rocsparse_complex_numIfEilEEvT2_PKT0_lPKT1_PKS3_21rocsparse_index_base_S3_PS3_PS4_lSC_.uses_vcc, 1
	.set _ZN9rocsparseL30csr2ell_strided_batched_kernelILj512E21rocsparse_complex_numIfEilEEvT2_PKT0_lPKT1_PKS3_21rocsparse_index_base_S3_PS3_PS4_lSC_.uses_flat_scratch, 0
	.set _ZN9rocsparseL30csr2ell_strided_batched_kernelILj512E21rocsparse_complex_numIfEilEEvT2_PKT0_lPKT1_PKS3_21rocsparse_index_base_S3_PS3_PS4_lSC_.has_dyn_sized_stack, 0
	.set _ZN9rocsparseL30csr2ell_strided_batched_kernelILj512E21rocsparse_complex_numIfEilEEvT2_PKT0_lPKT1_PKS3_21rocsparse_index_base_S3_PS3_PS4_lSC_.has_recursion, 0
	.set _ZN9rocsparseL30csr2ell_strided_batched_kernelILj512E21rocsparse_complex_numIfEilEEvT2_PKT0_lPKT1_PKS3_21rocsparse_index_base_S3_PS3_PS4_lSC_.has_indirect_call, 0
	.section	.AMDGPU.csdata,"",@progbits
; Kernel info:
; codeLenInByte = 548
; TotalNumSgprs: 28
; NumVgprs: 12
; ScratchSize: 0
; MemoryBound: 0
; FloatMode: 240
; IeeeMode: 1
; LDSByteSize: 0 bytes/workgroup (compile time only)
; SGPRBlocks: 0
; VGPRBlocks: 0
; NumSGPRsForWavesPerEU: 28
; NumVGPRsForWavesPerEU: 12
; NamedBarCnt: 0
; Occupancy: 16
; WaveLimiterHint : 0
; COMPUTE_PGM_RSRC2:SCRATCH_EN: 0
; COMPUTE_PGM_RSRC2:USER_SGPR: 2
; COMPUTE_PGM_RSRC2:TRAP_HANDLER: 0
; COMPUTE_PGM_RSRC2:TGID_X_EN: 1
; COMPUTE_PGM_RSRC2:TGID_Y_EN: 1
; COMPUTE_PGM_RSRC2:TGID_Z_EN: 0
; COMPUTE_PGM_RSRC2:TIDIG_COMP_CNT: 0
	.section	.text._ZN9rocsparseL30csr2ell_strided_batched_kernelILj512E21rocsparse_complex_numIfEllEEvT2_PKT0_lPKT1_PKS3_21rocsparse_index_base_S3_PS3_PS4_lSC_,"axG",@progbits,_ZN9rocsparseL30csr2ell_strided_batched_kernelILj512E21rocsparse_complex_numIfEllEEvT2_PKT0_lPKT1_PKS3_21rocsparse_index_base_S3_PS3_PS4_lSC_,comdat
	.globl	_ZN9rocsparseL30csr2ell_strided_batched_kernelILj512E21rocsparse_complex_numIfEllEEvT2_PKT0_lPKT1_PKS3_21rocsparse_index_base_S3_PS3_PS4_lSC_ ; -- Begin function _ZN9rocsparseL30csr2ell_strided_batched_kernelILj512E21rocsparse_complex_numIfEllEEvT2_PKT0_lPKT1_PKS3_21rocsparse_index_base_S3_PS3_PS4_lSC_
	.p2align	8
	.type	_ZN9rocsparseL30csr2ell_strided_batched_kernelILj512E21rocsparse_complex_numIfEllEEvT2_PKT0_lPKT1_PKS3_21rocsparse_index_base_S3_PS3_PS4_lSC_,@function
_ZN9rocsparseL30csr2ell_strided_batched_kernelILj512E21rocsparse_complex_numIfEllEEvT2_PKT0_lPKT1_PKS3_21rocsparse_index_base_S3_PS3_PS4_lSC_: ; @_ZN9rocsparseL30csr2ell_strided_batched_kernelILj512E21rocsparse_complex_numIfEllEEvT2_PKT0_lPKT1_PKS3_21rocsparse_index_base_S3_PS3_PS4_lSC_
; %bb.0:
	s_load_b256 s[4:11], s[0:1], 0x0
	s_bfe_u32 s2, ttmp6, 0x4000c
	s_and_b32 s3, ttmp6, 15
	s_add_co_i32 s2, s2, 1
	v_mov_b32_e32 v5, 0
	s_mul_i32 s12, ttmp9, s2
	s_getreg_b32 s2, hwreg(HW_REG_IB_STS2, 6, 4)
	s_add_co_i32 s3, s3, s12
	s_cmp_eq_u32 s2, 0
	s_mov_b32 s25, 0
	s_cselect_b32 s3, ttmp9, s3
	s_delay_alu instid0(SALU_CYCLE_1) | instskip(SKIP_2) | instid1(VALU_DEP_1)
	v_lshl_or_b32 v4, s3, 9, v0
	s_mov_b32 s3, exec_lo
	s_wait_kmcnt 0x0
	v_cmpx_gt_i64_e64 s[4:5], v[4:5]
	s_cbranch_execz .LBB15_7
; %bb.1:
	v_lshl_add_u64 v[0:1], v[4:5], 3, s[10:11]
	s_mov_b32 s11, s25
	s_bfe_u32 s3, ttmp6, 0x40010
	s_bfe_u32 s23, ttmp6, 0x40004
	s_add_co_i32 s3, s3, 1
	global_load_b128 v[0:3], v[0:1], off
	s_clause 0x1
	s_load_b96 s[20:22], s[0:1], 0x20
	s_load_b256 s[12:19], s[0:1], 0x30
	s_mul_i32 s3, ttmp7, s3
	s_delay_alu instid0(SALU_CYCLE_1)
	s_add_co_i32 s23, s23, s3
	s_cmp_eq_u32 s2, 0
	s_cselect_b32 s24, ttmp7, s23
	s_wait_kmcnt 0x0
	s_mov_b32 s10, s22
	v_cmp_gt_i64_e64 s23, s[12:13], 0
	s_mul_u64 s[2:3], s[18:19], s[24:25]
	s_delay_alu instid0(SALU_CYCLE_1) | instskip(NEXT) | instid1(SALU_CYCLE_1)
	s_lshl_b64 s[2:3], s[2:3], 3
	s_add_nc_u64 s[2:3], s[16:17], s[2:3]
	s_wait_loadcnt 0x0
	v_sub_nc_u64_e64 v[6:7], v[0:1], s[10:11]
	v_sub_nc_u64_e64 v[2:3], v[2:3], s[10:11]
	s_delay_alu instid0(VALU_DEP_2) | instskip(NEXT) | instid1(VALU_DEP_1)
	v_dual_mov_b32 v8, v6 :: v_dual_ashrrev_i32 v9, 31, v6
	v_cmp_gt_i64_e32 vcc_lo, v[2:3], v[8:9]
	s_and_b32 s17, s23, vcc_lo
	s_delay_alu instid0(SALU_CYCLE_1)
	s_and_saveexec_b32 s16, s17
	s_cbranch_execz .LBB15_4
; %bb.2:
	s_load_b32 s0, s[0:1], 0x50
	v_subrev_nc_u32_e32 v0, s22, v0
	s_mul_u64 s[8:9], s[8:9], s[24:25]
	s_wait_xcnt 0x0
	s_mov_b32 s1, 0
	s_lshl_b64 s[8:9], s[8:9], 3
	v_dual_mov_b32 v10, v4 :: v_dual_add_nc_u32 v0, 1, v0
	v_mov_b32_e32 v11, v6
	s_add_nc_u64 s[6:7], s[6:7], s[8:9]
	s_delay_alu instid0(VALU_DEP_2)
	v_ashrrev_i32_e32 v1, 31, v0
	s_wait_kmcnt 0x0
	s_sub_nc_u64 s[8:9], s[0:1], s[10:11]
	s_mov_b64 s[10:11], 1
.LBB15_3:                               ; =>This Inner Loop Header: Depth=1
	s_delay_alu instid0(VALU_DEP_2) | instskip(SKIP_1) | instid1(VALU_DEP_2)
	v_lshlrev_b64_e32 v[8:9], 3, v[8:9]
	v_cmp_ge_i64_e64 s0, s[10:11], s[12:13]
	v_add_nc_u64_e32 v[12:13], s[20:21], v[8:9]
	v_add_nc_u64_e32 v[8:9], s[6:7], v[8:9]
	global_load_b64 v[12:13], v[12:13], off
	s_wait_loadcnt 0x0
	s_wait_xcnt 0x0
	v_add_nc_u64_e32 v[12:13], s[8:9], v[12:13]
	global_store_b64 v10, v[12:13], s[14:15] scale_offset
	global_load_b64 v[12:13], v[8:9], off
	s_wait_xcnt 0x0
	v_add_nc_u64_e32 v[8:9], s[10:11], v[0:1]
	s_add_nc_u64 s[10:11], s[10:11], 1
	s_delay_alu instid0(VALU_DEP_1) | instskip(NEXT) | instid1(VALU_DEP_1)
	v_add_nc_u64_e32 v[8:9], -1, v[8:9]
	v_cmp_le_i64_e32 vcc_lo, v[2:3], v[8:9]
	v_add_nc_u32_e32 v8, 1, v11
	s_or_b32 s0, vcc_lo, s0
	s_delay_alu instid0(SALU_CYCLE_1) | instskip(NEXT) | instid1(SALU_CYCLE_1)
	s_and_b32 s0, exec_lo, s0
	s_or_b32 s1, s0, s1
	s_wait_loadcnt 0x0
	global_store_b64 v10, v[12:13], s[2:3] scale_offset
	s_wait_xcnt 0x0
	v_dual_add_nc_u32 v10, s4, v10 :: v_dual_ashrrev_i32 v9, 31, v8
	v_mov_b32_e32 v11, v8
	s_and_not1_b32 exec_lo, exec_lo, s1
	s_cbranch_execnz .LBB15_3
.LBB15_4:
	s_or_b32 exec_lo, exec_lo, s16
	v_sub_nc_u64_e32 v[0:1], v[2:3], v[6:7]
	s_delay_alu instid0(VALU_DEP_1)
	v_cmp_gt_i64_e32 vcc_lo, s[12:13], v[0:1]
	s_and_b32 exec_lo, exec_lo, vcc_lo
	s_cbranch_execz .LBB15_7
; %bb.5:
	v_mul_u64_e32 v[6:7], s[4:5], v[0:1]
	v_lshlrev_b64_e32 v[8:9], 3, v[4:5]
	v_mov_b64_e32 v[2:3], -1
	v_mov_b64_e32 v[4:5], 0
	s_lshl_b64 s[0:1], s[4:5], 3
	s_mov_b32 s4, 0
	s_delay_alu instid0(VALU_DEP_3)
	v_lshl_add_u64 v[6:7], v[6:7], 3, v[8:9]
.LBB15_6:                               ; =>This Inner Loop Header: Depth=1
	v_add_nc_u64_e32 v[0:1], 1, v[0:1]
	s_delay_alu instid0(VALU_DEP_2)
	v_add_nc_u64_e32 v[8:9], s[14:15], v[6:7]
	v_add_nc_u64_e32 v[10:11], s[2:3], v[6:7]
	v_add_nc_u64_e32 v[6:7], s[0:1], v[6:7]
	global_store_b64 v[8:9], v[2:3], off
	global_store_b64 v[10:11], v[4:5], off
	v_cmp_le_i64_e32 vcc_lo, s[12:13], v[0:1]
	s_or_b32 s4, vcc_lo, s4
	s_wait_xcnt 0x0
	s_and_not1_b32 exec_lo, exec_lo, s4
	s_cbranch_execnz .LBB15_6
.LBB15_7:
	s_endpgm
	.section	.rodata,"a",@progbits
	.p2align	6, 0x0
	.amdhsa_kernel _ZN9rocsparseL30csr2ell_strided_batched_kernelILj512E21rocsparse_complex_numIfEllEEvT2_PKT0_lPKT1_PKS3_21rocsparse_index_base_S3_PS3_PS4_lSC_
		.amdhsa_group_segment_fixed_size 0
		.amdhsa_private_segment_fixed_size 0
		.amdhsa_kernarg_size 84
		.amdhsa_user_sgpr_count 2
		.amdhsa_user_sgpr_dispatch_ptr 0
		.amdhsa_user_sgpr_queue_ptr 0
		.amdhsa_user_sgpr_kernarg_segment_ptr 1
		.amdhsa_user_sgpr_dispatch_id 0
		.amdhsa_user_sgpr_kernarg_preload_length 0
		.amdhsa_user_sgpr_kernarg_preload_offset 0
		.amdhsa_user_sgpr_private_segment_size 0
		.amdhsa_wavefront_size32 1
		.amdhsa_uses_dynamic_stack 0
		.amdhsa_enable_private_segment 0
		.amdhsa_system_sgpr_workgroup_id_x 1
		.amdhsa_system_sgpr_workgroup_id_y 1
		.amdhsa_system_sgpr_workgroup_id_z 0
		.amdhsa_system_sgpr_workgroup_info 0
		.amdhsa_system_vgpr_workitem_id 0
		.amdhsa_next_free_vgpr 14
		.amdhsa_next_free_sgpr 26
		.amdhsa_named_barrier_count 0
		.amdhsa_reserve_vcc 1
		.amdhsa_float_round_mode_32 0
		.amdhsa_float_round_mode_16_64 0
		.amdhsa_float_denorm_mode_32 3
		.amdhsa_float_denorm_mode_16_64 3
		.amdhsa_fp16_overflow 0
		.amdhsa_memory_ordered 1
		.amdhsa_forward_progress 1
		.amdhsa_inst_pref_size 5
		.amdhsa_round_robin_scheduling 0
		.amdhsa_exception_fp_ieee_invalid_op 0
		.amdhsa_exception_fp_denorm_src 0
		.amdhsa_exception_fp_ieee_div_zero 0
		.amdhsa_exception_fp_ieee_overflow 0
		.amdhsa_exception_fp_ieee_underflow 0
		.amdhsa_exception_fp_ieee_inexact 0
		.amdhsa_exception_int_div_zero 0
	.end_amdhsa_kernel
	.section	.text._ZN9rocsparseL30csr2ell_strided_batched_kernelILj512E21rocsparse_complex_numIfEllEEvT2_PKT0_lPKT1_PKS3_21rocsparse_index_base_S3_PS3_PS4_lSC_,"axG",@progbits,_ZN9rocsparseL30csr2ell_strided_batched_kernelILj512E21rocsparse_complex_numIfEllEEvT2_PKT0_lPKT1_PKS3_21rocsparse_index_base_S3_PS3_PS4_lSC_,comdat
.Lfunc_end15:
	.size	_ZN9rocsparseL30csr2ell_strided_batched_kernelILj512E21rocsparse_complex_numIfEllEEvT2_PKT0_lPKT1_PKS3_21rocsparse_index_base_S3_PS3_PS4_lSC_, .Lfunc_end15-_ZN9rocsparseL30csr2ell_strided_batched_kernelILj512E21rocsparse_complex_numIfEllEEvT2_PKT0_lPKT1_PKS3_21rocsparse_index_base_S3_PS3_PS4_lSC_
                                        ; -- End function
	.set _ZN9rocsparseL30csr2ell_strided_batched_kernelILj512E21rocsparse_complex_numIfEllEEvT2_PKT0_lPKT1_PKS3_21rocsparse_index_base_S3_PS3_PS4_lSC_.num_vgpr, 14
	.set _ZN9rocsparseL30csr2ell_strided_batched_kernelILj512E21rocsparse_complex_numIfEllEEvT2_PKT0_lPKT1_PKS3_21rocsparse_index_base_S3_PS3_PS4_lSC_.num_agpr, 0
	.set _ZN9rocsparseL30csr2ell_strided_batched_kernelILj512E21rocsparse_complex_numIfEllEEvT2_PKT0_lPKT1_PKS3_21rocsparse_index_base_S3_PS3_PS4_lSC_.numbered_sgpr, 26
	.set _ZN9rocsparseL30csr2ell_strided_batched_kernelILj512E21rocsparse_complex_numIfEllEEvT2_PKT0_lPKT1_PKS3_21rocsparse_index_base_S3_PS3_PS4_lSC_.num_named_barrier, 0
	.set _ZN9rocsparseL30csr2ell_strided_batched_kernelILj512E21rocsparse_complex_numIfEllEEvT2_PKT0_lPKT1_PKS3_21rocsparse_index_base_S3_PS3_PS4_lSC_.private_seg_size, 0
	.set _ZN9rocsparseL30csr2ell_strided_batched_kernelILj512E21rocsparse_complex_numIfEllEEvT2_PKT0_lPKT1_PKS3_21rocsparse_index_base_S3_PS3_PS4_lSC_.uses_vcc, 1
	.set _ZN9rocsparseL30csr2ell_strided_batched_kernelILj512E21rocsparse_complex_numIfEllEEvT2_PKT0_lPKT1_PKS3_21rocsparse_index_base_S3_PS3_PS4_lSC_.uses_flat_scratch, 0
	.set _ZN9rocsparseL30csr2ell_strided_batched_kernelILj512E21rocsparse_complex_numIfEllEEvT2_PKT0_lPKT1_PKS3_21rocsparse_index_base_S3_PS3_PS4_lSC_.has_dyn_sized_stack, 0
	.set _ZN9rocsparseL30csr2ell_strided_batched_kernelILj512E21rocsparse_complex_numIfEllEEvT2_PKT0_lPKT1_PKS3_21rocsparse_index_base_S3_PS3_PS4_lSC_.has_recursion, 0
	.set _ZN9rocsparseL30csr2ell_strided_batched_kernelILj512E21rocsparse_complex_numIfEllEEvT2_PKT0_lPKT1_PKS3_21rocsparse_index_base_S3_PS3_PS4_lSC_.has_indirect_call, 0
	.section	.AMDGPU.csdata,"",@progbits
; Kernel info:
; codeLenInByte = 608
; TotalNumSgprs: 28
; NumVgprs: 14
; ScratchSize: 0
; MemoryBound: 0
; FloatMode: 240
; IeeeMode: 1
; LDSByteSize: 0 bytes/workgroup (compile time only)
; SGPRBlocks: 0
; VGPRBlocks: 0
; NumSGPRsForWavesPerEU: 28
; NumVGPRsForWavesPerEU: 14
; NamedBarCnt: 0
; Occupancy: 16
; WaveLimiterHint : 0
; COMPUTE_PGM_RSRC2:SCRATCH_EN: 0
; COMPUTE_PGM_RSRC2:USER_SGPR: 2
; COMPUTE_PGM_RSRC2:TRAP_HANDLER: 0
; COMPUTE_PGM_RSRC2:TGID_X_EN: 1
; COMPUTE_PGM_RSRC2:TGID_Y_EN: 1
; COMPUTE_PGM_RSRC2:TGID_Z_EN: 0
; COMPUTE_PGM_RSRC2:TIDIG_COMP_CNT: 0
	.section	.text._ZN9rocsparseL30csr2ell_strided_batched_kernelILj512E21rocsparse_complex_numIdEiiEEvT2_PKT0_lPKT1_PKS3_21rocsparse_index_base_S3_PS3_PS4_lSC_,"axG",@progbits,_ZN9rocsparseL30csr2ell_strided_batched_kernelILj512E21rocsparse_complex_numIdEiiEEvT2_PKT0_lPKT1_PKS3_21rocsparse_index_base_S3_PS3_PS4_lSC_,comdat
	.globl	_ZN9rocsparseL30csr2ell_strided_batched_kernelILj512E21rocsparse_complex_numIdEiiEEvT2_PKT0_lPKT1_PKS3_21rocsparse_index_base_S3_PS3_PS4_lSC_ ; -- Begin function _ZN9rocsparseL30csr2ell_strided_batched_kernelILj512E21rocsparse_complex_numIdEiiEEvT2_PKT0_lPKT1_PKS3_21rocsparse_index_base_S3_PS3_PS4_lSC_
	.p2align	8
	.type	_ZN9rocsparseL30csr2ell_strided_batched_kernelILj512E21rocsparse_complex_numIdEiiEEvT2_PKT0_lPKT1_PKS3_21rocsparse_index_base_S3_PS3_PS4_lSC_,@function
_ZN9rocsparseL30csr2ell_strided_batched_kernelILj512E21rocsparse_complex_numIdEiiEEvT2_PKT0_lPKT1_PKS3_21rocsparse_index_base_S3_PS3_PS4_lSC_: ; @_ZN9rocsparseL30csr2ell_strided_batched_kernelILj512E21rocsparse_complex_numIdEiiEEvT2_PKT0_lPKT1_PKS3_21rocsparse_index_base_S3_PS3_PS4_lSC_
; %bb.0:
	s_load_b32 s18, s[0:1], 0x0
	s_bfe_u32 s2, ttmp6, 0x4000c
	s_and_b32 s3, ttmp6, 15
	s_add_co_i32 s2, s2, 1
	s_getreg_b32 s16, hwreg(HW_REG_IB_STS2, 6, 4)
	s_mul_i32 s2, ttmp9, s2
	s_mov_b32 s17, 0
	s_add_co_i32 s3, s3, s2
	s_cmp_eq_u32 s16, 0
	s_cselect_b32 s2, ttmp9, s3
	s_delay_alu instid0(SALU_CYCLE_1) | instskip(SKIP_3) | instid1(VALU_DEP_1)
	s_lshl_b32 s19, s2, 9
	s_mov_b32 s2, exec_lo
	v_or_b32_e32 v2, s19, v0
	s_wait_kmcnt 0x0
	v_cmpx_gt_i32_e64 s18, v2
	s_cbranch_execz .LBB16_7
; %bb.1:
	s_load_b256 s[4:11], s[0:1], 0x8
	v_ashrrev_i32_e32 v3, 31, v2
	s_bfe_u32 s20, ttmp6, 0x40010
	s_bfe_u32 s21, ttmp6, 0x40004
	s_add_co_i32 s20, s20, 1
	s_delay_alu instid0(SALU_CYCLE_1) | instskip(NEXT) | instid1(SALU_CYCLE_1)
	s_mul_i32 s20, ttmp7, s20
	s_add_co_i32 s21, s21, s20
	s_cmp_eq_u32 s16, 0
	s_cselect_b32 s16, ttmp7, s21
	s_wait_kmcnt 0x0
	v_lshl_add_u64 v[4:5], v[2:3], 2, s[8:9]
	global_load_b64 v[6:7], v[4:5], off
	s_clause 0x2
	s_load_b64 s[8:9], s[0:1], 0x40
	s_load_b64 s[2:3], s[0:1], 0x28
	s_load_b128 s[12:15], s[0:1], 0x30
	s_wait_kmcnt 0x0
	s_mul_u64 s[8:9], s[8:9], s[16:17]
	s_delay_alu instid0(SALU_CYCLE_1)
	s_lshl_b64 s[8:9], s[8:9], 4
	s_cmp_gt_i32 s3, 0
	s_add_nc_u64 s[8:9], s[14:15], s[8:9]
	s_cselect_b32 s20, -1, 0
	s_wait_loadcnt 0x0
	v_cmp_lt_i32_e32 vcc_lo, v6, v7
	v_subrev_nc_u32_e32 v4, s2, v6
	v_subrev_nc_u32_e32 v1, s2, v7
	s_and_b32 s15, s20, vcc_lo
	s_delay_alu instid0(SALU_CYCLE_1)
	s_and_saveexec_b32 s14, s15
	s_cbranch_execz .LBB16_4
; %bb.2:
	s_load_b32 s15, s[0:1], 0x48
	s_wait_xcnt 0x0
	s_mul_u64 s[0:1], s[6:7], s[16:17]
	v_ashrrev_i32_e32 v5, 31, v4
	s_lshl_b64 s[0:1], s[0:1], 4
	s_delay_alu instid0(SALU_CYCLE_1) | instskip(NEXT) | instid1(VALU_DEP_1)
	s_add_nc_u64 s[0:1], s[4:5], s[0:1]
	v_lshl_add_u64 v[6:7], v[4:5], 2, s[10:11]
	v_lshl_add_u64 v[8:9], v[4:5], 4, s[0:1]
	s_mov_b32 s0, 1
	s_wait_kmcnt 0x0
	s_sub_co_i32 s1, s15, s2
	s_mov_b32 s2, 0
.LBB16_3:                               ; =>This Inner Loop Header: Depth=1
	global_load_b32 v3, v[6:7], off
	s_cmp_ge_i32 s0, s3
	s_wait_xcnt 0x0
	v_add_nc_u64_e32 v[6:7], 4, v[6:7]
	s_cselect_b32 s4, -1, 0
	s_wait_loadcnt 0x0
	v_add_nc_u32_e32 v3, s1, v3
	global_store_b32 v2, v3, s[12:13] scale_offset
	global_load_b128 v[10:13], v[8:9], off
	s_wait_xcnt 0x1
	v_add_nc_u32_e32 v3, s0, v4
	s_wait_xcnt 0x0
	v_add_nc_u64_e32 v[8:9], 16, v[8:9]
	s_add_co_i32 s0, s0, 1
	s_delay_alu instid0(VALU_DEP_2) | instskip(SKIP_1) | instid1(SALU_CYCLE_1)
	v_cmp_ge_i32_e32 vcc_lo, v3, v1
	s_or_b32 s4, vcc_lo, s4
	s_and_b32 s4, exec_lo, s4
	s_delay_alu instid0(SALU_CYCLE_1)
	s_or_b32 s2, s4, s2
	s_wait_loadcnt 0x0
	global_store_b128 v2, v[10:13], s[8:9] scale_offset
	s_wait_xcnt 0x0
	v_add_nc_u32_e32 v2, s18, v2
	s_and_not1_b32 exec_lo, exec_lo, s2
	s_cbranch_execnz .LBB16_3
.LBB16_4:
	s_or_b32 exec_lo, exec_lo, s14
	v_sub_nc_u32_e32 v1, v1, v4
	s_delay_alu instid0(VALU_DEP_1)
	v_cmp_gt_i32_e32 vcc_lo, s3, v1
	s_and_b32 exec_lo, exec_lo, vcc_lo
	s_cbranch_execz .LBB16_7
; %bb.5:
	v_mul_lo_u32 v5, s18, v1
	v_dual_mov_b32 v2, 0 :: v_dual_mov_b32 v6, -1
	s_mov_b32 s0, 0
	s_delay_alu instid0(VALU_DEP_1) | instskip(NEXT) | instid1(VALU_DEP_3)
	v_dual_mov_b32 v3, v2 :: v_dual_mov_b32 v4, v2
	v_add3_u32 v0, v0, v5, s19
	v_mov_b32_e32 v5, v2
.LBB16_6:                               ; =>This Inner Loop Header: Depth=1
	v_add_nc_u32_e32 v1, 1, v1
	s_clause 0x1
	global_store_b32 v0, v6, s[12:13] scale_offset
	global_store_b128 v0, v[2:5], s[8:9] scale_offset
	s_wait_xcnt 0x0
	v_add_nc_u32_e32 v0, s18, v0
	v_cmp_le_i32_e32 vcc_lo, s3, v1
	s_or_b32 s0, vcc_lo, s0
	s_delay_alu instid0(SALU_CYCLE_1)
	s_and_not1_b32 exec_lo, exec_lo, s0
	s_cbranch_execnz .LBB16_6
.LBB16_7:
	s_endpgm
	.section	.rodata,"a",@progbits
	.p2align	6, 0x0
	.amdhsa_kernel _ZN9rocsparseL30csr2ell_strided_batched_kernelILj512E21rocsparse_complex_numIdEiiEEvT2_PKT0_lPKT1_PKS3_21rocsparse_index_base_S3_PS3_PS4_lSC_
		.amdhsa_group_segment_fixed_size 0
		.amdhsa_private_segment_fixed_size 0
		.amdhsa_kernarg_size 76
		.amdhsa_user_sgpr_count 2
		.amdhsa_user_sgpr_dispatch_ptr 0
		.amdhsa_user_sgpr_queue_ptr 0
		.amdhsa_user_sgpr_kernarg_segment_ptr 1
		.amdhsa_user_sgpr_dispatch_id 0
		.amdhsa_user_sgpr_kernarg_preload_length 0
		.amdhsa_user_sgpr_kernarg_preload_offset 0
		.amdhsa_user_sgpr_private_segment_size 0
		.amdhsa_wavefront_size32 1
		.amdhsa_uses_dynamic_stack 0
		.amdhsa_enable_private_segment 0
		.amdhsa_system_sgpr_workgroup_id_x 1
		.amdhsa_system_sgpr_workgroup_id_y 1
		.amdhsa_system_sgpr_workgroup_id_z 0
		.amdhsa_system_sgpr_workgroup_info 0
		.amdhsa_system_vgpr_workitem_id 0
		.amdhsa_next_free_vgpr 14
		.amdhsa_next_free_sgpr 22
		.amdhsa_named_barrier_count 0
		.amdhsa_reserve_vcc 1
		.amdhsa_float_round_mode_32 0
		.amdhsa_float_round_mode_16_64 0
		.amdhsa_float_denorm_mode_32 3
		.amdhsa_float_denorm_mode_16_64 3
		.amdhsa_fp16_overflow 0
		.amdhsa_memory_ordered 1
		.amdhsa_forward_progress 1
		.amdhsa_inst_pref_size 5
		.amdhsa_round_robin_scheduling 0
		.amdhsa_exception_fp_ieee_invalid_op 0
		.amdhsa_exception_fp_denorm_src 0
		.amdhsa_exception_fp_ieee_div_zero 0
		.amdhsa_exception_fp_ieee_overflow 0
		.amdhsa_exception_fp_ieee_underflow 0
		.amdhsa_exception_fp_ieee_inexact 0
		.amdhsa_exception_int_div_zero 0
	.end_amdhsa_kernel
	.section	.text._ZN9rocsparseL30csr2ell_strided_batched_kernelILj512E21rocsparse_complex_numIdEiiEEvT2_PKT0_lPKT1_PKS3_21rocsparse_index_base_S3_PS3_PS4_lSC_,"axG",@progbits,_ZN9rocsparseL30csr2ell_strided_batched_kernelILj512E21rocsparse_complex_numIdEiiEEvT2_PKT0_lPKT1_PKS3_21rocsparse_index_base_S3_PS3_PS4_lSC_,comdat
.Lfunc_end16:
	.size	_ZN9rocsparseL30csr2ell_strided_batched_kernelILj512E21rocsparse_complex_numIdEiiEEvT2_PKT0_lPKT1_PKS3_21rocsparse_index_base_S3_PS3_PS4_lSC_, .Lfunc_end16-_ZN9rocsparseL30csr2ell_strided_batched_kernelILj512E21rocsparse_complex_numIdEiiEEvT2_PKT0_lPKT1_PKS3_21rocsparse_index_base_S3_PS3_PS4_lSC_
                                        ; -- End function
	.set _ZN9rocsparseL30csr2ell_strided_batched_kernelILj512E21rocsparse_complex_numIdEiiEEvT2_PKT0_lPKT1_PKS3_21rocsparse_index_base_S3_PS3_PS4_lSC_.num_vgpr, 14
	.set _ZN9rocsparseL30csr2ell_strided_batched_kernelILj512E21rocsparse_complex_numIdEiiEEvT2_PKT0_lPKT1_PKS3_21rocsparse_index_base_S3_PS3_PS4_lSC_.num_agpr, 0
	.set _ZN9rocsparseL30csr2ell_strided_batched_kernelILj512E21rocsparse_complex_numIdEiiEEvT2_PKT0_lPKT1_PKS3_21rocsparse_index_base_S3_PS3_PS4_lSC_.numbered_sgpr, 22
	.set _ZN9rocsparseL30csr2ell_strided_batched_kernelILj512E21rocsparse_complex_numIdEiiEEvT2_PKT0_lPKT1_PKS3_21rocsparse_index_base_S3_PS3_PS4_lSC_.num_named_barrier, 0
	.set _ZN9rocsparseL30csr2ell_strided_batched_kernelILj512E21rocsparse_complex_numIdEiiEEvT2_PKT0_lPKT1_PKS3_21rocsparse_index_base_S3_PS3_PS4_lSC_.private_seg_size, 0
	.set _ZN9rocsparseL30csr2ell_strided_batched_kernelILj512E21rocsparse_complex_numIdEiiEEvT2_PKT0_lPKT1_PKS3_21rocsparse_index_base_S3_PS3_PS4_lSC_.uses_vcc, 1
	.set _ZN9rocsparseL30csr2ell_strided_batched_kernelILj512E21rocsparse_complex_numIdEiiEEvT2_PKT0_lPKT1_PKS3_21rocsparse_index_base_S3_PS3_PS4_lSC_.uses_flat_scratch, 0
	.set _ZN9rocsparseL30csr2ell_strided_batched_kernelILj512E21rocsparse_complex_numIdEiiEEvT2_PKT0_lPKT1_PKS3_21rocsparse_index_base_S3_PS3_PS4_lSC_.has_dyn_sized_stack, 0
	.set _ZN9rocsparseL30csr2ell_strided_batched_kernelILj512E21rocsparse_complex_numIdEiiEEvT2_PKT0_lPKT1_PKS3_21rocsparse_index_base_S3_PS3_PS4_lSC_.has_recursion, 0
	.set _ZN9rocsparseL30csr2ell_strided_batched_kernelILj512E21rocsparse_complex_numIdEiiEEvT2_PKT0_lPKT1_PKS3_21rocsparse_index_base_S3_PS3_PS4_lSC_.has_indirect_call, 0
	.section	.AMDGPU.csdata,"",@progbits
; Kernel info:
; codeLenInByte = 580
; TotalNumSgprs: 24
; NumVgprs: 14
; ScratchSize: 0
; MemoryBound: 0
; FloatMode: 240
; IeeeMode: 1
; LDSByteSize: 0 bytes/workgroup (compile time only)
; SGPRBlocks: 0
; VGPRBlocks: 0
; NumSGPRsForWavesPerEU: 24
; NumVGPRsForWavesPerEU: 14
; NamedBarCnt: 0
; Occupancy: 16
; WaveLimiterHint : 0
; COMPUTE_PGM_RSRC2:SCRATCH_EN: 0
; COMPUTE_PGM_RSRC2:USER_SGPR: 2
; COMPUTE_PGM_RSRC2:TRAP_HANDLER: 0
; COMPUTE_PGM_RSRC2:TGID_X_EN: 1
; COMPUTE_PGM_RSRC2:TGID_Y_EN: 1
; COMPUTE_PGM_RSRC2:TGID_Z_EN: 0
; COMPUTE_PGM_RSRC2:TIDIG_COMP_CNT: 0
	.section	.text._ZN9rocsparseL30csr2ell_strided_batched_kernelILj512E21rocsparse_complex_numIdEliEEvT2_PKT0_lPKT1_PKS3_21rocsparse_index_base_S3_PS3_PS4_lSC_,"axG",@progbits,_ZN9rocsparseL30csr2ell_strided_batched_kernelILj512E21rocsparse_complex_numIdEliEEvT2_PKT0_lPKT1_PKS3_21rocsparse_index_base_S3_PS3_PS4_lSC_,comdat
	.globl	_ZN9rocsparseL30csr2ell_strided_batched_kernelILj512E21rocsparse_complex_numIdEliEEvT2_PKT0_lPKT1_PKS3_21rocsparse_index_base_S3_PS3_PS4_lSC_ ; -- Begin function _ZN9rocsparseL30csr2ell_strided_batched_kernelILj512E21rocsparse_complex_numIdEliEEvT2_PKT0_lPKT1_PKS3_21rocsparse_index_base_S3_PS3_PS4_lSC_
	.p2align	8
	.type	_ZN9rocsparseL30csr2ell_strided_batched_kernelILj512E21rocsparse_complex_numIdEliEEvT2_PKT0_lPKT1_PKS3_21rocsparse_index_base_S3_PS3_PS4_lSC_,@function
_ZN9rocsparseL30csr2ell_strided_batched_kernelILj512E21rocsparse_complex_numIdEliEEvT2_PKT0_lPKT1_PKS3_21rocsparse_index_base_S3_PS3_PS4_lSC_: ; @_ZN9rocsparseL30csr2ell_strided_batched_kernelILj512E21rocsparse_complex_numIdEliEEvT2_PKT0_lPKT1_PKS3_21rocsparse_index_base_S3_PS3_PS4_lSC_
; %bb.0:
	s_load_b32 s18, s[0:1], 0x0
	s_bfe_u32 s2, ttmp6, 0x4000c
	s_and_b32 s3, ttmp6, 15
	s_add_co_i32 s2, s2, 1
	s_getreg_b32 s16, hwreg(HW_REG_IB_STS2, 6, 4)
	s_mul_i32 s2, ttmp9, s2
	s_mov_b32 s17, 0
	s_add_co_i32 s3, s3, s2
	s_cmp_eq_u32 s16, 0
	s_cselect_b32 s2, ttmp9, s3
	s_delay_alu instid0(SALU_CYCLE_1) | instskip(SKIP_3) | instid1(VALU_DEP_1)
	s_lshl_b32 s19, s2, 9
	s_mov_b32 s2, exec_lo
	v_or_b32_e32 v6, s19, v0
	s_wait_kmcnt 0x0
	v_cmpx_gt_i32_e64 s18, v6
	s_cbranch_execz .LBB17_7
; %bb.1:
	s_load_b256 s[4:11], s[0:1], 0x8
	v_ashrrev_i32_e32 v7, 31, v6
	s_mov_b32 s21, s17
	s_bfe_u32 s22, ttmp6, 0x40010
	s_bfe_u32 s23, ttmp6, 0x40004
	s_add_co_i32 s22, s22, 1
	s_delay_alu instid0(SALU_CYCLE_1) | instskip(NEXT) | instid1(SALU_CYCLE_1)
	s_mul_i32 s22, ttmp7, s22
	s_add_co_i32 s23, s23, s22
	s_cmp_eq_u32 s16, 0
	s_cselect_b32 s16, ttmp7, s23
	s_wait_kmcnt 0x0
	v_lshl_add_u64 v[2:3], v[6:7], 3, s[8:9]
	global_load_b128 v[2:5], v[2:3], off
	s_clause 0x2
	s_load_b64 s[2:3], s[0:1], 0x28
	s_load_b64 s[8:9], s[0:1], 0x40
	s_load_b128 s[12:15], s[0:1], 0x30
	s_wait_kmcnt 0x0
	s_mov_b32 s20, s2
	s_mul_u64 s[8:9], s[8:9], s[16:17]
	s_delay_alu instid0(SALU_CYCLE_1)
	s_lshl_b64 s[8:9], s[8:9], 4
	s_cmp_gt_i32 s3, 0
	s_add_nc_u64 s[8:9], s[14:15], s[8:9]
	s_wait_loadcnt 0x0
	v_sub_nc_u64_e64 v[8:9], v[2:3], s[20:21]
	v_sub_nc_u64_e64 v[4:5], v[4:5], s[20:21]
	s_cselect_b32 s20, -1, 0
	s_delay_alu instid0(VALU_DEP_2) | instskip(NEXT) | instid1(VALU_DEP_1)
	v_ashrrev_i32_e32 v9, 31, v8
	v_cmp_gt_i64_e32 vcc_lo, v[4:5], v[8:9]
	s_and_b32 s15, s20, vcc_lo
	s_delay_alu instid0(SALU_CYCLE_1)
	s_and_saveexec_b32 s14, s15
	s_cbranch_execz .LBB17_4
; %bb.2:
	s_load_b32 s15, s[0:1], 0x48
	v_subrev_nc_u32_e32 v1, s2, v2
	v_mov_b64_e32 v[10:11], v[8:9]
	s_wait_xcnt 0x0
	s_mul_u64 s[0:1], s[6:7], s[16:17]
	s_mov_b64 s[6:7], 0
	s_lshl_b64 s[0:1], s[0:1], 4
	v_dual_mov_b32 v1, v8 :: v_dual_add_nc_u32 v2, 1, v1
	s_add_nc_u64 s[0:1], s[4:5], s[0:1]
	s_mov_b32 s4, 0
	s_delay_alu instid0(VALU_DEP_1)
	v_ashrrev_i32_e32 v3, 31, v2
	s_wait_kmcnt 0x0
	s_sub_co_i32 s2, s15, s2
.LBB17_3:                               ; =>This Inner Loop Header: Depth=1
	v_lshl_add_u64 v[12:13], v[10:11], 2, s[10:11]
	v_lshl_add_u64 v[10:11], v[10:11], 4, s[0:1]
	v_add_nc_u64_e32 v[16:17], s[6:7], v[2:3]
	s_add_nc_u64 s[6:7], s[6:7], 1
	s_delay_alu instid0(SALU_CYCLE_1) | instskip(SKIP_4) | instid1(SALU_CYCLE_1)
	s_cmp_ge_i32 s6, s3
	global_load_b32 v7, v[12:13], off
	s_cselect_b32 s5, -1, 0
	v_cmp_le_i64_e32 vcc_lo, v[4:5], v[16:17]
	s_or_b32 s5, vcc_lo, s5
	s_and_b32 s5, exec_lo, s5
	s_delay_alu instid0(SALU_CYCLE_1)
	s_or_b32 s4, s5, s4
	s_wait_loadcnt 0x0
	v_add_nc_u32_e32 v7, s2, v7
	global_store_b32 v6, v7, s[12:13] scale_offset
	global_load_b128 v[12:15], v[10:11], off
	s_wait_xcnt 0x0
	v_add_nc_u32_e32 v10, 1, v1
	s_delay_alu instid0(VALU_DEP_1)
	v_dual_ashrrev_i32 v11, 31, v10 :: v_dual_mov_b32 v1, v10
	s_wait_loadcnt 0x0
	global_store_b128 v6, v[12:15], s[8:9] scale_offset
	s_wait_xcnt 0x0
	v_add_nc_u32_e32 v6, s18, v6
	s_and_not1_b32 exec_lo, exec_lo, s4
	s_cbranch_execnz .LBB17_3
.LBB17_4:
	s_or_b32 exec_lo, exec_lo, s14
	v_sub_nc_u32_e32 v1, v4, v8
	s_delay_alu instid0(VALU_DEP_1)
	v_cmp_gt_i32_e32 vcc_lo, s3, v1
	s_and_b32 exec_lo, exec_lo, vcc_lo
	s_cbranch_execz .LBB17_7
; %bb.5:
	v_mul_lo_u32 v5, s18, v1
	v_dual_mov_b32 v2, 0 :: v_dual_mov_b32 v6, -1
	s_mov_b32 s0, 0
	s_delay_alu instid0(VALU_DEP_1) | instskip(NEXT) | instid1(VALU_DEP_3)
	v_dual_mov_b32 v3, v2 :: v_dual_mov_b32 v4, v2
	v_add3_u32 v0, v0, v5, s19
	v_mov_b32_e32 v5, v2
.LBB17_6:                               ; =>This Inner Loop Header: Depth=1
	v_add_nc_u32_e32 v1, 1, v1
	s_clause 0x1
	global_store_b32 v0, v6, s[12:13] scale_offset
	global_store_b128 v0, v[2:5], s[8:9] scale_offset
	s_wait_xcnt 0x0
	v_add_nc_u32_e32 v0, s18, v0
	v_cmp_le_i32_e32 vcc_lo, s3, v1
	s_or_b32 s0, vcc_lo, s0
	s_delay_alu instid0(SALU_CYCLE_1)
	s_and_not1_b32 exec_lo, exec_lo, s0
	s_cbranch_execnz .LBB17_6
.LBB17_7:
	s_endpgm
	.section	.rodata,"a",@progbits
	.p2align	6, 0x0
	.amdhsa_kernel _ZN9rocsparseL30csr2ell_strided_batched_kernelILj512E21rocsparse_complex_numIdEliEEvT2_PKT0_lPKT1_PKS3_21rocsparse_index_base_S3_PS3_PS4_lSC_
		.amdhsa_group_segment_fixed_size 0
		.amdhsa_private_segment_fixed_size 0
		.amdhsa_kernarg_size 76
		.amdhsa_user_sgpr_count 2
		.amdhsa_user_sgpr_dispatch_ptr 0
		.amdhsa_user_sgpr_queue_ptr 0
		.amdhsa_user_sgpr_kernarg_segment_ptr 1
		.amdhsa_user_sgpr_dispatch_id 0
		.amdhsa_user_sgpr_kernarg_preload_length 0
		.amdhsa_user_sgpr_kernarg_preload_offset 0
		.amdhsa_user_sgpr_private_segment_size 0
		.amdhsa_wavefront_size32 1
		.amdhsa_uses_dynamic_stack 0
		.amdhsa_enable_private_segment 0
		.amdhsa_system_sgpr_workgroup_id_x 1
		.amdhsa_system_sgpr_workgroup_id_y 1
		.amdhsa_system_sgpr_workgroup_id_z 0
		.amdhsa_system_sgpr_workgroup_info 0
		.amdhsa_system_vgpr_workitem_id 0
		.amdhsa_next_free_vgpr 18
		.amdhsa_next_free_sgpr 24
		.amdhsa_named_barrier_count 0
		.amdhsa_reserve_vcc 1
		.amdhsa_float_round_mode_32 0
		.amdhsa_float_round_mode_16_64 0
		.amdhsa_float_denorm_mode_32 3
		.amdhsa_float_denorm_mode_16_64 3
		.amdhsa_fp16_overflow 0
		.amdhsa_memory_ordered 1
		.amdhsa_forward_progress 1
		.amdhsa_inst_pref_size 5
		.amdhsa_round_robin_scheduling 0
		.amdhsa_exception_fp_ieee_invalid_op 0
		.amdhsa_exception_fp_denorm_src 0
		.amdhsa_exception_fp_ieee_div_zero 0
		.amdhsa_exception_fp_ieee_overflow 0
		.amdhsa_exception_fp_ieee_underflow 0
		.amdhsa_exception_fp_ieee_inexact 0
		.amdhsa_exception_int_div_zero 0
	.end_amdhsa_kernel
	.section	.text._ZN9rocsparseL30csr2ell_strided_batched_kernelILj512E21rocsparse_complex_numIdEliEEvT2_PKT0_lPKT1_PKS3_21rocsparse_index_base_S3_PS3_PS4_lSC_,"axG",@progbits,_ZN9rocsparseL30csr2ell_strided_batched_kernelILj512E21rocsparse_complex_numIdEliEEvT2_PKT0_lPKT1_PKS3_21rocsparse_index_base_S3_PS3_PS4_lSC_,comdat
.Lfunc_end17:
	.size	_ZN9rocsparseL30csr2ell_strided_batched_kernelILj512E21rocsparse_complex_numIdEliEEvT2_PKT0_lPKT1_PKS3_21rocsparse_index_base_S3_PS3_PS4_lSC_, .Lfunc_end17-_ZN9rocsparseL30csr2ell_strided_batched_kernelILj512E21rocsparse_complex_numIdEliEEvT2_PKT0_lPKT1_PKS3_21rocsparse_index_base_S3_PS3_PS4_lSC_
                                        ; -- End function
	.set _ZN9rocsparseL30csr2ell_strided_batched_kernelILj512E21rocsparse_complex_numIdEliEEvT2_PKT0_lPKT1_PKS3_21rocsparse_index_base_S3_PS3_PS4_lSC_.num_vgpr, 18
	.set _ZN9rocsparseL30csr2ell_strided_batched_kernelILj512E21rocsparse_complex_numIdEliEEvT2_PKT0_lPKT1_PKS3_21rocsparse_index_base_S3_PS3_PS4_lSC_.num_agpr, 0
	.set _ZN9rocsparseL30csr2ell_strided_batched_kernelILj512E21rocsparse_complex_numIdEliEEvT2_PKT0_lPKT1_PKS3_21rocsparse_index_base_S3_PS3_PS4_lSC_.numbered_sgpr, 24
	.set _ZN9rocsparseL30csr2ell_strided_batched_kernelILj512E21rocsparse_complex_numIdEliEEvT2_PKT0_lPKT1_PKS3_21rocsparse_index_base_S3_PS3_PS4_lSC_.num_named_barrier, 0
	.set _ZN9rocsparseL30csr2ell_strided_batched_kernelILj512E21rocsparse_complex_numIdEliEEvT2_PKT0_lPKT1_PKS3_21rocsparse_index_base_S3_PS3_PS4_lSC_.private_seg_size, 0
	.set _ZN9rocsparseL30csr2ell_strided_batched_kernelILj512E21rocsparse_complex_numIdEliEEvT2_PKT0_lPKT1_PKS3_21rocsparse_index_base_S3_PS3_PS4_lSC_.uses_vcc, 1
	.set _ZN9rocsparseL30csr2ell_strided_batched_kernelILj512E21rocsparse_complex_numIdEliEEvT2_PKT0_lPKT1_PKS3_21rocsparse_index_base_S3_PS3_PS4_lSC_.uses_flat_scratch, 0
	.set _ZN9rocsparseL30csr2ell_strided_batched_kernelILj512E21rocsparse_complex_numIdEliEEvT2_PKT0_lPKT1_PKS3_21rocsparse_index_base_S3_PS3_PS4_lSC_.has_dyn_sized_stack, 0
	.set _ZN9rocsparseL30csr2ell_strided_batched_kernelILj512E21rocsparse_complex_numIdEliEEvT2_PKT0_lPKT1_PKS3_21rocsparse_index_base_S3_PS3_PS4_lSC_.has_recursion, 0
	.set _ZN9rocsparseL30csr2ell_strided_batched_kernelILj512E21rocsparse_complex_numIdEliEEvT2_PKT0_lPKT1_PKS3_21rocsparse_index_base_S3_PS3_PS4_lSC_.has_indirect_call, 0
	.section	.AMDGPU.csdata,"",@progbits
; Kernel info:
; codeLenInByte = 624
; TotalNumSgprs: 26
; NumVgprs: 18
; ScratchSize: 0
; MemoryBound: 0
; FloatMode: 240
; IeeeMode: 1
; LDSByteSize: 0 bytes/workgroup (compile time only)
; SGPRBlocks: 0
; VGPRBlocks: 1
; NumSGPRsForWavesPerEU: 26
; NumVGPRsForWavesPerEU: 18
; NamedBarCnt: 0
; Occupancy: 16
; WaveLimiterHint : 0
; COMPUTE_PGM_RSRC2:SCRATCH_EN: 0
; COMPUTE_PGM_RSRC2:USER_SGPR: 2
; COMPUTE_PGM_RSRC2:TRAP_HANDLER: 0
; COMPUTE_PGM_RSRC2:TGID_X_EN: 1
; COMPUTE_PGM_RSRC2:TGID_Y_EN: 1
; COMPUTE_PGM_RSRC2:TGID_Z_EN: 0
; COMPUTE_PGM_RSRC2:TIDIG_COMP_CNT: 0
	.section	.text._ZN9rocsparseL30csr2ell_strided_batched_kernelILj512E21rocsparse_complex_numIdEilEEvT2_PKT0_lPKT1_PKS3_21rocsparse_index_base_S3_PS3_PS4_lSC_,"axG",@progbits,_ZN9rocsparseL30csr2ell_strided_batched_kernelILj512E21rocsparse_complex_numIdEilEEvT2_PKT0_lPKT1_PKS3_21rocsparse_index_base_S3_PS3_PS4_lSC_,comdat
	.globl	_ZN9rocsparseL30csr2ell_strided_batched_kernelILj512E21rocsparse_complex_numIdEilEEvT2_PKT0_lPKT1_PKS3_21rocsparse_index_base_S3_PS3_PS4_lSC_ ; -- Begin function _ZN9rocsparseL30csr2ell_strided_batched_kernelILj512E21rocsparse_complex_numIdEilEEvT2_PKT0_lPKT1_PKS3_21rocsparse_index_base_S3_PS3_PS4_lSC_
	.p2align	8
	.type	_ZN9rocsparseL30csr2ell_strided_batched_kernelILj512E21rocsparse_complex_numIdEilEEvT2_PKT0_lPKT1_PKS3_21rocsparse_index_base_S3_PS3_PS4_lSC_,@function
_ZN9rocsparseL30csr2ell_strided_batched_kernelILj512E21rocsparse_complex_numIdEilEEvT2_PKT0_lPKT1_PKS3_21rocsparse_index_base_S3_PS3_PS4_lSC_: ; @_ZN9rocsparseL30csr2ell_strided_batched_kernelILj512E21rocsparse_complex_numIdEilEEvT2_PKT0_lPKT1_PKS3_21rocsparse_index_base_S3_PS3_PS4_lSC_
; %bb.0:
	s_load_b256 s[4:11], s[0:1], 0x0
	s_bfe_u32 s2, ttmp6, 0x4000c
	s_and_b32 s3, ttmp6, 15
	s_add_co_i32 s2, s2, 1
	s_mov_b32 s25, 0
	s_mul_i32 s12, ttmp9, s2
	s_getreg_b32 s2, hwreg(HW_REG_IB_STS2, 6, 4)
	s_add_co_i32 s3, s3, s12
	s_cmp_eq_u32 s2, 0
	v_mov_b32_e32 v3, 0
	s_cselect_b32 s3, ttmp9, s3
	s_delay_alu instid0(SALU_CYCLE_1) | instskip(SKIP_3) | instid1(VALU_DEP_1)
	s_lshl_b32 s23, s3, 9
	s_mov_b32 s3, exec_lo
	v_or_b32_e32 v2, s23, v0
	s_wait_kmcnt 0x0
	v_cmpx_gt_i64_e64 s[4:5], v[2:3]
	s_cbranch_execz .LBB18_7
; %bb.1:
	v_lshl_add_u64 v[4:5], v[2:3], 2, s[10:11]
	s_bfe_u32 s3, ttmp6, 0x40010
	s_bfe_u32 s5, ttmp6, 0x40004
	s_add_co_i32 s3, s3, 1
	s_delay_alu instid0(SALU_CYCLE_1)
	s_mul_i32 s3, ttmp7, s3
	global_load_b64 v[4:5], v[4:5], off
	s_clause 0x1
	s_load_b256 s[12:19], s[0:1], 0x30
	s_load_b96 s[20:22], s[0:1], 0x20
	s_add_co_i32 s5, s5, s3
	s_cmp_eq_u32 s2, 0
	s_cselect_b32 s24, ttmp7, s5
	s_wait_kmcnt 0x0
	v_cmp_gt_i64_e64 s5, s[12:13], 0
	s_mul_u64 s[2:3], s[18:19], s[24:25]
	s_delay_alu instid0(SALU_CYCLE_1) | instskip(NEXT) | instid1(SALU_CYCLE_1)
	s_lshl_b64 s[2:3], s[2:3], 4
	s_add_nc_u64 s[2:3], s[16:17], s[2:3]
	s_wait_loadcnt 0x0
	v_cmp_lt_i32_e32 vcc_lo, v4, v5
	v_subrev_nc_u32_e32 v4, s22, v4
	v_subrev_nc_u32_e32 v1, s22, v5
	s_and_b32 s10, s5, vcc_lo
	s_delay_alu instid0(SALU_CYCLE_1)
	s_and_saveexec_b32 s5, s10
	s_cbranch_execz .LBB18_4
; %bb.2:
	s_load_b32 s0, s[0:1], 0x50
	s_mul_u64 s[8:9], s[8:9], s[24:25]
	v_ashrrev_i32_e32 v5, 31, v4
	s_lshl_b64 s[8:9], s[8:9], 4
	s_wait_xcnt 0x0
	s_mov_b32 s1, 0
	s_add_nc_u64 s[6:7], s[6:7], s[8:9]
	s_mov_b32 s10, s22
	v_lshl_add_u64 v[6:7], v[4:5], 3, s[20:21]
	v_lshl_add_u64 v[8:9], v[4:5], 4, s[6:7]
	s_mov_b32 s11, s1
	s_mov_b64 s[8:9], 1
	s_wait_kmcnt 0x0
	s_sub_nc_u64 s[6:7], s[0:1], s[10:11]
.LBB18_3:                               ; =>This Inner Loop Header: Depth=1
	global_load_b64 v[10:11], v[6:7], off
	v_add_nc_u32_e32 v3, s8, v4
	v_cmp_ge_i64_e64 s0, s[8:9], s[12:13]
	s_wait_xcnt 0x0
	v_add_nc_u64_e32 v[6:7], 8, v[6:7]
	s_add_nc_u64 s[8:9], s[8:9], 1
	s_wait_loadcnt 0x0
	v_add_nc_u64_e32 v[10:11], s[6:7], v[10:11]
	global_store_b64 v2, v[10:11], s[14:15] scale_offset
	global_load_b128 v[10:13], v[8:9], off
	s_wait_xcnt 0x0
	v_add_nc_u64_e32 v[8:9], 16, v[8:9]
	s_wait_loadcnt 0x0
	global_store_b128 v2, v[10:13], s[2:3] scale_offset
	s_wait_xcnt 0x0
	v_add_nc_u32_e32 v2, s4, v2
	v_cmp_ge_i32_e32 vcc_lo, v3, v1
	s_or_b32 s0, vcc_lo, s0
	s_delay_alu instid0(SALU_CYCLE_1) | instskip(NEXT) | instid1(SALU_CYCLE_1)
	s_and_b32 s0, exec_lo, s0
	s_or_b32 s1, s0, s1
	s_delay_alu instid0(SALU_CYCLE_1)
	s_and_not1_b32 exec_lo, exec_lo, s1
	s_cbranch_execnz .LBB18_3
.LBB18_4:
	s_or_b32 exec_lo, exec_lo, s5
	v_sub_nc_u32_e32 v6, v1, v4
	s_delay_alu instid0(VALU_DEP_1) | instskip(NEXT) | instid1(VALU_DEP_1)
	v_ashrrev_i32_e32 v7, 31, v6
	v_cmp_gt_i64_e32 vcc_lo, s[12:13], v[6:7]
	s_and_b32 exec_lo, exec_lo, vcc_lo
	s_cbranch_execz .LBB18_7
; %bb.5:
	v_mul_lo_u32 v1, v6, s4
	v_mov_b32_e32 v2, 0
	v_mov_b64_e32 v[8:9], -1
	s_mov_b32 s0, 0
	s_delay_alu instid0(VALU_DEP_2)
	v_dual_mov_b32 v3, v2 :: v_dual_mov_b32 v4, v2
	v_mov_b32_e32 v5, v2
	v_add3_u32 v0, v0, v1, s23
.LBB18_6:                               ; =>This Inner Loop Header: Depth=1
	v_add_nc_u64_e32 v[6:7], 1, v[6:7]
	s_clause 0x1
	global_store_b64 v0, v[8:9], s[14:15] scale_offset
	global_store_b128 v0, v[2:5], s[2:3] scale_offset
	s_wait_xcnt 0x0
	v_add_nc_u32_e32 v0, s4, v0
	v_cmp_le_i64_e32 vcc_lo, s[12:13], v[6:7]
	s_or_b32 s0, vcc_lo, s0
	s_delay_alu instid0(SALU_CYCLE_1)
	s_and_not1_b32 exec_lo, exec_lo, s0
	s_cbranch_execnz .LBB18_6
.LBB18_7:
	s_endpgm
	.section	.rodata,"a",@progbits
	.p2align	6, 0x0
	.amdhsa_kernel _ZN9rocsparseL30csr2ell_strided_batched_kernelILj512E21rocsparse_complex_numIdEilEEvT2_PKT0_lPKT1_PKS3_21rocsparse_index_base_S3_PS3_PS4_lSC_
		.amdhsa_group_segment_fixed_size 0
		.amdhsa_private_segment_fixed_size 0
		.amdhsa_kernarg_size 84
		.amdhsa_user_sgpr_count 2
		.amdhsa_user_sgpr_dispatch_ptr 0
		.amdhsa_user_sgpr_queue_ptr 0
		.amdhsa_user_sgpr_kernarg_segment_ptr 1
		.amdhsa_user_sgpr_dispatch_id 0
		.amdhsa_user_sgpr_kernarg_preload_length 0
		.amdhsa_user_sgpr_kernarg_preload_offset 0
		.amdhsa_user_sgpr_private_segment_size 0
		.amdhsa_wavefront_size32 1
		.amdhsa_uses_dynamic_stack 0
		.amdhsa_enable_private_segment 0
		.amdhsa_system_sgpr_workgroup_id_x 1
		.amdhsa_system_sgpr_workgroup_id_y 1
		.amdhsa_system_sgpr_workgroup_id_z 0
		.amdhsa_system_sgpr_workgroup_info 0
		.amdhsa_system_vgpr_workitem_id 0
		.amdhsa_next_free_vgpr 14
		.amdhsa_next_free_sgpr 26
		.amdhsa_named_barrier_count 0
		.amdhsa_reserve_vcc 1
		.amdhsa_float_round_mode_32 0
		.amdhsa_float_round_mode_16_64 0
		.amdhsa_float_denorm_mode_32 3
		.amdhsa_float_denorm_mode_16_64 3
		.amdhsa_fp16_overflow 0
		.amdhsa_memory_ordered 1
		.amdhsa_forward_progress 1
		.amdhsa_inst_pref_size 5
		.amdhsa_round_robin_scheduling 0
		.amdhsa_exception_fp_ieee_invalid_op 0
		.amdhsa_exception_fp_denorm_src 0
		.amdhsa_exception_fp_ieee_div_zero 0
		.amdhsa_exception_fp_ieee_overflow 0
		.amdhsa_exception_fp_ieee_underflow 0
		.amdhsa_exception_fp_ieee_inexact 0
		.amdhsa_exception_int_div_zero 0
	.end_amdhsa_kernel
	.section	.text._ZN9rocsparseL30csr2ell_strided_batched_kernelILj512E21rocsparse_complex_numIdEilEEvT2_PKT0_lPKT1_PKS3_21rocsparse_index_base_S3_PS3_PS4_lSC_,"axG",@progbits,_ZN9rocsparseL30csr2ell_strided_batched_kernelILj512E21rocsparse_complex_numIdEilEEvT2_PKT0_lPKT1_PKS3_21rocsparse_index_base_S3_PS3_PS4_lSC_,comdat
.Lfunc_end18:
	.size	_ZN9rocsparseL30csr2ell_strided_batched_kernelILj512E21rocsparse_complex_numIdEilEEvT2_PKT0_lPKT1_PKS3_21rocsparse_index_base_S3_PS3_PS4_lSC_, .Lfunc_end18-_ZN9rocsparseL30csr2ell_strided_batched_kernelILj512E21rocsparse_complex_numIdEilEEvT2_PKT0_lPKT1_PKS3_21rocsparse_index_base_S3_PS3_PS4_lSC_
                                        ; -- End function
	.set _ZN9rocsparseL30csr2ell_strided_batched_kernelILj512E21rocsparse_complex_numIdEilEEvT2_PKT0_lPKT1_PKS3_21rocsparse_index_base_S3_PS3_PS4_lSC_.num_vgpr, 14
	.set _ZN9rocsparseL30csr2ell_strided_batched_kernelILj512E21rocsparse_complex_numIdEilEEvT2_PKT0_lPKT1_PKS3_21rocsparse_index_base_S3_PS3_PS4_lSC_.num_agpr, 0
	.set _ZN9rocsparseL30csr2ell_strided_batched_kernelILj512E21rocsparse_complex_numIdEilEEvT2_PKT0_lPKT1_PKS3_21rocsparse_index_base_S3_PS3_PS4_lSC_.numbered_sgpr, 26
	.set _ZN9rocsparseL30csr2ell_strided_batched_kernelILj512E21rocsparse_complex_numIdEilEEvT2_PKT0_lPKT1_PKS3_21rocsparse_index_base_S3_PS3_PS4_lSC_.num_named_barrier, 0
	.set _ZN9rocsparseL30csr2ell_strided_batched_kernelILj512E21rocsparse_complex_numIdEilEEvT2_PKT0_lPKT1_PKS3_21rocsparse_index_base_S3_PS3_PS4_lSC_.private_seg_size, 0
	.set _ZN9rocsparseL30csr2ell_strided_batched_kernelILj512E21rocsparse_complex_numIdEilEEvT2_PKT0_lPKT1_PKS3_21rocsparse_index_base_S3_PS3_PS4_lSC_.uses_vcc, 1
	.set _ZN9rocsparseL30csr2ell_strided_batched_kernelILj512E21rocsparse_complex_numIdEilEEvT2_PKT0_lPKT1_PKS3_21rocsparse_index_base_S3_PS3_PS4_lSC_.uses_flat_scratch, 0
	.set _ZN9rocsparseL30csr2ell_strided_batched_kernelILj512E21rocsparse_complex_numIdEilEEvT2_PKT0_lPKT1_PKS3_21rocsparse_index_base_S3_PS3_PS4_lSC_.has_dyn_sized_stack, 0
	.set _ZN9rocsparseL30csr2ell_strided_batched_kernelILj512E21rocsparse_complex_numIdEilEEvT2_PKT0_lPKT1_PKS3_21rocsparse_index_base_S3_PS3_PS4_lSC_.has_recursion, 0
	.set _ZN9rocsparseL30csr2ell_strided_batched_kernelILj512E21rocsparse_complex_numIdEilEEvT2_PKT0_lPKT1_PKS3_21rocsparse_index_base_S3_PS3_PS4_lSC_.has_indirect_call, 0
	.section	.AMDGPU.csdata,"",@progbits
; Kernel info:
; codeLenInByte = 560
; TotalNumSgprs: 28
; NumVgprs: 14
; ScratchSize: 0
; MemoryBound: 0
; FloatMode: 240
; IeeeMode: 1
; LDSByteSize: 0 bytes/workgroup (compile time only)
; SGPRBlocks: 0
; VGPRBlocks: 0
; NumSGPRsForWavesPerEU: 28
; NumVGPRsForWavesPerEU: 14
; NamedBarCnt: 0
; Occupancy: 16
; WaveLimiterHint : 0
; COMPUTE_PGM_RSRC2:SCRATCH_EN: 0
; COMPUTE_PGM_RSRC2:USER_SGPR: 2
; COMPUTE_PGM_RSRC2:TRAP_HANDLER: 0
; COMPUTE_PGM_RSRC2:TGID_X_EN: 1
; COMPUTE_PGM_RSRC2:TGID_Y_EN: 1
; COMPUTE_PGM_RSRC2:TGID_Z_EN: 0
; COMPUTE_PGM_RSRC2:TIDIG_COMP_CNT: 0
	.section	.text._ZN9rocsparseL30csr2ell_strided_batched_kernelILj512E21rocsparse_complex_numIdEllEEvT2_PKT0_lPKT1_PKS3_21rocsparse_index_base_S3_PS3_PS4_lSC_,"axG",@progbits,_ZN9rocsparseL30csr2ell_strided_batched_kernelILj512E21rocsparse_complex_numIdEllEEvT2_PKT0_lPKT1_PKS3_21rocsparse_index_base_S3_PS3_PS4_lSC_,comdat
	.globl	_ZN9rocsparseL30csr2ell_strided_batched_kernelILj512E21rocsparse_complex_numIdEllEEvT2_PKT0_lPKT1_PKS3_21rocsparse_index_base_S3_PS3_PS4_lSC_ ; -- Begin function _ZN9rocsparseL30csr2ell_strided_batched_kernelILj512E21rocsparse_complex_numIdEllEEvT2_PKT0_lPKT1_PKS3_21rocsparse_index_base_S3_PS3_PS4_lSC_
	.p2align	8
	.type	_ZN9rocsparseL30csr2ell_strided_batched_kernelILj512E21rocsparse_complex_numIdEllEEvT2_PKT0_lPKT1_PKS3_21rocsparse_index_base_S3_PS3_PS4_lSC_,@function
_ZN9rocsparseL30csr2ell_strided_batched_kernelILj512E21rocsparse_complex_numIdEllEEvT2_PKT0_lPKT1_PKS3_21rocsparse_index_base_S3_PS3_PS4_lSC_: ; @_ZN9rocsparseL30csr2ell_strided_batched_kernelILj512E21rocsparse_complex_numIdEllEEvT2_PKT0_lPKT1_PKS3_21rocsparse_index_base_S3_PS3_PS4_lSC_
; %bb.0:
	s_load_b256 s[4:11], s[0:1], 0x0
	s_bfe_u32 s2, ttmp6, 0x4000c
	s_and_b32 s3, ttmp6, 15
	s_add_co_i32 s2, s2, 1
	v_mov_b32_e32 v5, 0
	s_mul_i32 s12, ttmp9, s2
	s_getreg_b32 s2, hwreg(HW_REG_IB_STS2, 6, 4)
	s_add_co_i32 s3, s3, s12
	s_cmp_eq_u32 s2, 0
	s_mov_b32 s25, 0
	s_cselect_b32 s3, ttmp9, s3
	s_delay_alu instid0(SALU_CYCLE_1) | instskip(SKIP_2) | instid1(VALU_DEP_1)
	v_lshl_or_b32 v4, s3, 9, v0
	s_mov_b32 s3, exec_lo
	s_wait_kmcnt 0x0
	v_cmpx_gt_i64_e64 s[4:5], v[4:5]
	s_cbranch_execz .LBB19_7
; %bb.1:
	v_lshl_add_u64 v[0:1], v[4:5], 3, s[10:11]
	s_mov_b32 s11, s25
	s_bfe_u32 s3, ttmp6, 0x40010
	s_bfe_u32 s23, ttmp6, 0x40004
	s_add_co_i32 s3, s3, 1
	global_load_b128 v[0:3], v[0:1], off
	s_clause 0x1
	s_load_b96 s[20:22], s[0:1], 0x20
	s_load_b256 s[12:19], s[0:1], 0x30
	s_mul_i32 s3, ttmp7, s3
	s_delay_alu instid0(SALU_CYCLE_1)
	s_add_co_i32 s23, s23, s3
	s_cmp_eq_u32 s2, 0
	s_cselect_b32 s24, ttmp7, s23
	s_wait_kmcnt 0x0
	s_mov_b32 s10, s22
	v_cmp_gt_i64_e64 s26, s[12:13], 0
	s_mul_u64 s[2:3], s[18:19], s[24:25]
	s_wait_loadcnt 0x0
	v_sub_nc_u64_e64 v[6:7], v[0:1], s[10:11]
	v_sub_nc_u64_e64 v[2:3], v[2:3], s[10:11]
	s_delay_alu instid0(VALU_DEP_2) | instskip(NEXT) | instid1(VALU_DEP_1)
	v_dual_mov_b32 v8, v6 :: v_dual_ashrrev_i32 v9, 31, v6
	v_cmp_gt_i64_e32 vcc_lo, v[2:3], v[8:9]
	s_and_b32 s18, s26, vcc_lo
	s_delay_alu instid0(SALU_CYCLE_1)
	s_and_saveexec_b32 s23, s18
	s_cbranch_execz .LBB19_4
; %bb.2:
	s_load_b32 s0, s[0:1], 0x50
	v_subrev_nc_u32_e32 v0, s22, v0
	s_mul_u64 s[8:9], s[8:9], s[24:25]
	s_wait_xcnt 0x0
	s_mov_b32 s1, 0
	s_lshl_b64 s[18:19], s[2:3], 4
	v_dual_mov_b32 v10, v4 :: v_dual_add_nc_u32 v0, 1, v0
	v_mov_b32_e32 v11, v6
	s_lshl_b64 s[24:25], s[8:9], 4
	s_add_nc_u64 s[8:9], s[16:17], s[18:19]
	s_add_nc_u64 s[6:7], s[6:7], s[24:25]
	v_ashrrev_i32_e32 v1, 31, v0
	s_mov_b64 s[18:19], 1
	s_wait_kmcnt 0x0
	s_sub_nc_u64 s[10:11], s[0:1], s[10:11]
.LBB19_3:                               ; =>This Inner Loop Header: Depth=1
	s_delay_alu instid0(VALU_DEP_2)
	v_lshl_add_u64 v[12:13], v[8:9], 3, s[20:21]
	v_lshl_add_u64 v[8:9], v[8:9], 4, s[6:7]
	v_cmp_ge_i64_e64 s0, s[18:19], s[12:13]
	global_load_b64 v[12:13], v[12:13], off
	s_wait_loadcnt 0x0
	s_wait_xcnt 0x0
	v_add_nc_u64_e32 v[12:13], s[10:11], v[12:13]
	global_store_b64 v10, v[12:13], s[14:15] scale_offset
	global_load_b128 v[12:15], v[8:9], off
	s_wait_xcnt 0x0
	v_add_nc_u64_e32 v[8:9], s[18:19], v[0:1]
	s_add_nc_u64 s[18:19], s[18:19], 1
	s_delay_alu instid0(VALU_DEP_1) | instskip(NEXT) | instid1(VALU_DEP_1)
	v_add_nc_u64_e32 v[8:9], -1, v[8:9]
	v_cmp_le_i64_e32 vcc_lo, v[2:3], v[8:9]
	v_add_nc_u32_e32 v8, 1, v11
	s_or_b32 s0, vcc_lo, s0
	s_delay_alu instid0(SALU_CYCLE_1) | instskip(NEXT) | instid1(SALU_CYCLE_1)
	s_and_b32 s0, exec_lo, s0
	s_or_b32 s1, s0, s1
	s_wait_loadcnt 0x0
	global_store_b128 v10, v[12:15], s[8:9] scale_offset
	s_wait_xcnt 0x0
	v_dual_add_nc_u32 v10, s4, v10 :: v_dual_ashrrev_i32 v9, 31, v8
	v_mov_b32_e32 v11, v8
	s_and_not1_b32 exec_lo, exec_lo, s1
	s_cbranch_execnz .LBB19_3
.LBB19_4:
	s_or_b32 exec_lo, exec_lo, s23
	v_sub_nc_u64_e32 v[6:7], v[2:3], v[6:7]
	s_delay_alu instid0(VALU_DEP_1)
	v_cmp_gt_i64_e32 vcc_lo, s[12:13], v[6:7]
	s_and_b32 exec_lo, exec_lo, vcc_lo
	s_cbranch_execz .LBB19_7
; %bb.5:
	v_mul_u64_e32 v[0:1], s[4:5], v[6:7]
	s_lshl_b64 s[0:1], s[2:3], 4
	v_lshlrev_b64_e32 v[8:9], 3, v[4:5]
	s_lshl_b64 s[2:3], s[4:5], 4
	s_delay_alu instid0(VALU_DEP_2) | instskip(NEXT) | instid1(VALU_DEP_2)
	v_lshl_add_u64 v[2:3], v[0:1], 4, s[0:1]
	v_lshl_add_u64 v[8:9], v[0:1], 3, v[8:9]
	v_mov_b32_e32 v0, 0
	s_lshl_b64 s[0:1], s[4:5], 3
	s_mov_b32 s4, 0
	v_lshl_add_u64 v[2:3], v[4:5], 4, v[2:3]
	v_mov_b64_e32 v[4:5], -1
	v_add_nc_u64_e32 v[8:9], s[14:15], v[8:9]
	v_mov_b32_e32 v1, v0
	s_delay_alu instid0(VALU_DEP_4) | instskip(NEXT) | instid1(VALU_DEP_1)
	v_add_nc_u64_e32 v[2:3], s[16:17], v[2:3]
	v_add_nc_u64_e32 v[10:11], 8, v[2:3]
	v_dual_mov_b32 v2, v0 :: v_dual_mov_b32 v3, v0
.LBB19_6:                               ; =>This Inner Loop Header: Depth=1
	v_add_nc_u64_e32 v[6:7], 1, v[6:7]
	global_store_b64 v[8:9], v[4:5], off
	global_store_b128 v[10:11], v[0:3], off offset:-8
	s_wait_xcnt 0x1
	v_add_nc_u64_e32 v[8:9], s[0:1], v[8:9]
	s_wait_xcnt 0x0
	v_add_nc_u64_e32 v[10:11], s[2:3], v[10:11]
	v_cmp_le_i64_e32 vcc_lo, s[12:13], v[6:7]
	s_or_b32 s4, vcc_lo, s4
	s_delay_alu instid0(SALU_CYCLE_1)
	s_and_not1_b32 exec_lo, exec_lo, s4
	s_cbranch_execnz .LBB19_6
.LBB19_7:
	s_endpgm
	.section	.rodata,"a",@progbits
	.p2align	6, 0x0
	.amdhsa_kernel _ZN9rocsparseL30csr2ell_strided_batched_kernelILj512E21rocsparse_complex_numIdEllEEvT2_PKT0_lPKT1_PKS3_21rocsparse_index_base_S3_PS3_PS4_lSC_
		.amdhsa_group_segment_fixed_size 0
		.amdhsa_private_segment_fixed_size 0
		.amdhsa_kernarg_size 84
		.amdhsa_user_sgpr_count 2
		.amdhsa_user_sgpr_dispatch_ptr 0
		.amdhsa_user_sgpr_queue_ptr 0
		.amdhsa_user_sgpr_kernarg_segment_ptr 1
		.amdhsa_user_sgpr_dispatch_id 0
		.amdhsa_user_sgpr_kernarg_preload_length 0
		.amdhsa_user_sgpr_kernarg_preload_offset 0
		.amdhsa_user_sgpr_private_segment_size 0
		.amdhsa_wavefront_size32 1
		.amdhsa_uses_dynamic_stack 0
		.amdhsa_enable_private_segment 0
		.amdhsa_system_sgpr_workgroup_id_x 1
		.amdhsa_system_sgpr_workgroup_id_y 1
		.amdhsa_system_sgpr_workgroup_id_z 0
		.amdhsa_system_sgpr_workgroup_info 0
		.amdhsa_system_vgpr_workitem_id 0
		.amdhsa_next_free_vgpr 16
		.amdhsa_next_free_sgpr 27
		.amdhsa_named_barrier_count 0
		.amdhsa_reserve_vcc 1
		.amdhsa_float_round_mode_32 0
		.amdhsa_float_round_mode_16_64 0
		.amdhsa_float_denorm_mode_32 3
		.amdhsa_float_denorm_mode_16_64 3
		.amdhsa_fp16_overflow 0
		.amdhsa_memory_ordered 1
		.amdhsa_forward_progress 1
		.amdhsa_inst_pref_size 6
		.amdhsa_round_robin_scheduling 0
		.amdhsa_exception_fp_ieee_invalid_op 0
		.amdhsa_exception_fp_denorm_src 0
		.amdhsa_exception_fp_ieee_div_zero 0
		.amdhsa_exception_fp_ieee_overflow 0
		.amdhsa_exception_fp_ieee_underflow 0
		.amdhsa_exception_fp_ieee_inexact 0
		.amdhsa_exception_int_div_zero 0
	.end_amdhsa_kernel
	.section	.text._ZN9rocsparseL30csr2ell_strided_batched_kernelILj512E21rocsparse_complex_numIdEllEEvT2_PKT0_lPKT1_PKS3_21rocsparse_index_base_S3_PS3_PS4_lSC_,"axG",@progbits,_ZN9rocsparseL30csr2ell_strided_batched_kernelILj512E21rocsparse_complex_numIdEllEEvT2_PKT0_lPKT1_PKS3_21rocsparse_index_base_S3_PS3_PS4_lSC_,comdat
.Lfunc_end19:
	.size	_ZN9rocsparseL30csr2ell_strided_batched_kernelILj512E21rocsparse_complex_numIdEllEEvT2_PKT0_lPKT1_PKS3_21rocsparse_index_base_S3_PS3_PS4_lSC_, .Lfunc_end19-_ZN9rocsparseL30csr2ell_strided_batched_kernelILj512E21rocsparse_complex_numIdEllEEvT2_PKT0_lPKT1_PKS3_21rocsparse_index_base_S3_PS3_PS4_lSC_
                                        ; -- End function
	.set _ZN9rocsparseL30csr2ell_strided_batched_kernelILj512E21rocsparse_complex_numIdEllEEvT2_PKT0_lPKT1_PKS3_21rocsparse_index_base_S3_PS3_PS4_lSC_.num_vgpr, 16
	.set _ZN9rocsparseL30csr2ell_strided_batched_kernelILj512E21rocsparse_complex_numIdEllEEvT2_PKT0_lPKT1_PKS3_21rocsparse_index_base_S3_PS3_PS4_lSC_.num_agpr, 0
	.set _ZN9rocsparseL30csr2ell_strided_batched_kernelILj512E21rocsparse_complex_numIdEllEEvT2_PKT0_lPKT1_PKS3_21rocsparse_index_base_S3_PS3_PS4_lSC_.numbered_sgpr, 27
	.set _ZN9rocsparseL30csr2ell_strided_batched_kernelILj512E21rocsparse_complex_numIdEllEEvT2_PKT0_lPKT1_PKS3_21rocsparse_index_base_S3_PS3_PS4_lSC_.num_named_barrier, 0
	.set _ZN9rocsparseL30csr2ell_strided_batched_kernelILj512E21rocsparse_complex_numIdEllEEvT2_PKT0_lPKT1_PKS3_21rocsparse_index_base_S3_PS3_PS4_lSC_.private_seg_size, 0
	.set _ZN9rocsparseL30csr2ell_strided_batched_kernelILj512E21rocsparse_complex_numIdEllEEvT2_PKT0_lPKT1_PKS3_21rocsparse_index_base_S3_PS3_PS4_lSC_.uses_vcc, 1
	.set _ZN9rocsparseL30csr2ell_strided_batched_kernelILj512E21rocsparse_complex_numIdEllEEvT2_PKT0_lPKT1_PKS3_21rocsparse_index_base_S3_PS3_PS4_lSC_.uses_flat_scratch, 0
	.set _ZN9rocsparseL30csr2ell_strided_batched_kernelILj512E21rocsparse_complex_numIdEllEEvT2_PKT0_lPKT1_PKS3_21rocsparse_index_base_S3_PS3_PS4_lSC_.has_dyn_sized_stack, 0
	.set _ZN9rocsparseL30csr2ell_strided_batched_kernelILj512E21rocsparse_complex_numIdEllEEvT2_PKT0_lPKT1_PKS3_21rocsparse_index_base_S3_PS3_PS4_lSC_.has_recursion, 0
	.set _ZN9rocsparseL30csr2ell_strided_batched_kernelILj512E21rocsparse_complex_numIdEllEEvT2_PKT0_lPKT1_PKS3_21rocsparse_index_base_S3_PS3_PS4_lSC_.has_indirect_call, 0
	.section	.AMDGPU.csdata,"",@progbits
; Kernel info:
; codeLenInByte = 656
; TotalNumSgprs: 29
; NumVgprs: 16
; ScratchSize: 0
; MemoryBound: 0
; FloatMode: 240
; IeeeMode: 1
; LDSByteSize: 0 bytes/workgroup (compile time only)
; SGPRBlocks: 0
; VGPRBlocks: 0
; NumSGPRsForWavesPerEU: 29
; NumVGPRsForWavesPerEU: 16
; NamedBarCnt: 0
; Occupancy: 16
; WaveLimiterHint : 0
; COMPUTE_PGM_RSRC2:SCRATCH_EN: 0
; COMPUTE_PGM_RSRC2:USER_SGPR: 2
; COMPUTE_PGM_RSRC2:TRAP_HANDLER: 0
; COMPUTE_PGM_RSRC2:TGID_X_EN: 1
; COMPUTE_PGM_RSRC2:TGID_Y_EN: 1
; COMPUTE_PGM_RSRC2:TGID_Z_EN: 0
; COMPUTE_PGM_RSRC2:TIDIG_COMP_CNT: 0
	.section	.AMDGPU.gpr_maximums,"",@progbits
	.set amdgpu.max_num_vgpr, 0
	.set amdgpu.max_num_agpr, 0
	.set amdgpu.max_num_sgpr, 0
	.section	.AMDGPU.csdata,"",@progbits
	.type	__hip_cuid_50e7905c23817244,@object ; @__hip_cuid_50e7905c23817244
	.section	.bss,"aw",@nobits
	.globl	__hip_cuid_50e7905c23817244
__hip_cuid_50e7905c23817244:
	.byte	0                               ; 0x0
	.size	__hip_cuid_50e7905c23817244, 1

	.ident	"AMD clang version 22.0.0git (https://github.com/RadeonOpenCompute/llvm-project roc-7.2.4 26084 f58b06dce1f9c15707c5f808fd002e18c2accf7e)"
	.section	".note.GNU-stack","",@progbits
	.addrsig
	.addrsig_sym __hip_cuid_50e7905c23817244
	.amdgpu_metadata
---
amdhsa.kernels:
  - .args:
      - .offset:         0
        .size:           4
        .value_kind:     by_value
      - .address_space:  global
        .offset:         8
        .size:           8
        .value_kind:     global_buffer
      - .offset:         16
        .size:           8
        .value_kind:     by_value
      - .address_space:  global
        .offset:         24
        .size:           8
        .value_kind:     global_buffer
      - .address_space:  global
        .offset:         32
        .size:           8
        .value_kind:     global_buffer
      - .offset:         40
        .size:           4
        .value_kind:     by_value
      - .offset:         44
        .size:           4
        .value_kind:     by_value
      - .address_space:  global
        .offset:         48
        .size:           8
        .value_kind:     global_buffer
      - .address_space:  global
        .offset:         56
        .size:           8
        .value_kind:     global_buffer
      - .offset:         64
        .size:           8
        .value_kind:     by_value
      - .offset:         72
        .size:           4
        .value_kind:     by_value
    .group_segment_fixed_size: 0
    .kernarg_segment_align: 8
    .kernarg_segment_size: 76
    .language:       OpenCL C
    .language_version:
      - 2
      - 0
    .max_flat_workgroup_size: 512
    .name:           _ZN9rocsparseL30csr2ell_strided_batched_kernelILj512EiiiEEvT2_PKT0_lPKT1_PKS1_21rocsparse_index_base_S1_PS1_PS2_lSA_
    .private_segment_fixed_size: 0
    .sgpr_count:     24
    .sgpr_spill_count: 0
    .symbol:         _ZN9rocsparseL30csr2ell_strided_batched_kernelILj512EiiiEEvT2_PKT0_lPKT1_PKS1_21rocsparse_index_base_S1_PS1_PS2_lSA_.kd
    .uniform_work_group_size: 1
    .uses_dynamic_stack: false
    .vgpr_count:     10
    .vgpr_spill_count: 0
    .wavefront_size: 32
  - .args:
      - .offset:         0
        .size:           4
        .value_kind:     by_value
      - .address_space:  global
        .offset:         8
        .size:           8
        .value_kind:     global_buffer
      - .offset:         16
        .size:           8
        .value_kind:     by_value
      - .address_space:  global
        .offset:         24
        .size:           8
        .value_kind:     global_buffer
      - .address_space:  global
        .offset:         32
        .size:           8
        .value_kind:     global_buffer
      - .offset:         40
        .size:           4
        .value_kind:     by_value
      - .offset:         44
        .size:           4
        .value_kind:     by_value
      - .address_space:  global
        .offset:         48
        .size:           8
        .value_kind:     global_buffer
      - .address_space:  global
        .offset:         56
        .size:           8
        .value_kind:     global_buffer
      - .offset:         64
        .size:           8
        .value_kind:     by_value
      - .offset:         72
        .size:           4
        .value_kind:     by_value
    .group_segment_fixed_size: 0
    .kernarg_segment_align: 8
    .kernarg_segment_size: 76
    .language:       OpenCL C
    .language_version:
      - 2
      - 0
    .max_flat_workgroup_size: 512
    .name:           _ZN9rocsparseL30csr2ell_strided_batched_kernelILj512EiliEEvT2_PKT0_lPKT1_PKS1_21rocsparse_index_base_S1_PS1_PS2_lSA_
    .private_segment_fixed_size: 0
    .sgpr_count:     26
    .sgpr_spill_count: 0
    .symbol:         _ZN9rocsparseL30csr2ell_strided_batched_kernelILj512EiliEEvT2_PKT0_lPKT1_PKS1_21rocsparse_index_base_S1_PS1_PS2_lSA_.kd
    .uniform_work_group_size: 1
    .uses_dynamic_stack: false
    .vgpr_count:     14
    .vgpr_spill_count: 0
    .wavefront_size: 32
  - .args:
      - .offset:         0
        .size:           8
        .value_kind:     by_value
      - .address_space:  global
        .offset:         8
        .size:           8
        .value_kind:     global_buffer
      - .offset:         16
        .size:           8
        .value_kind:     by_value
      - .address_space:  global
        .offset:         24
        .size:           8
        .value_kind:     global_buffer
      - .address_space:  global
        .offset:         32
        .size:           8
        .value_kind:     global_buffer
      - .offset:         40
        .size:           4
        .value_kind:     by_value
      - .offset:         48
        .size:           8
        .value_kind:     by_value
      - .address_space:  global
        .offset:         56
        .size:           8
        .value_kind:     global_buffer
      - .address_space:  global
        .offset:         64
        .size:           8
        .value_kind:     global_buffer
      - .offset:         72
        .size:           8
        .value_kind:     by_value
      - .offset:         80
        .size:           4
        .value_kind:     by_value
    .group_segment_fixed_size: 0
    .kernarg_segment_align: 8
    .kernarg_segment_size: 84
    .language:       OpenCL C
    .language_version:
      - 2
      - 0
    .max_flat_workgroup_size: 512
    .name:           _ZN9rocsparseL30csr2ell_strided_batched_kernelILj512EiilEEvT2_PKT0_lPKT1_PKS1_21rocsparse_index_base_S1_PS1_PS2_lSA_
    .private_segment_fixed_size: 0
    .sgpr_count:     28
    .sgpr_spill_count: 0
    .symbol:         _ZN9rocsparseL30csr2ell_strided_batched_kernelILj512EiilEEvT2_PKT0_lPKT1_PKS1_21rocsparse_index_base_S1_PS1_PS2_lSA_.kd
    .uniform_work_group_size: 1
    .uses_dynamic_stack: false
    .vgpr_count:     12
    .vgpr_spill_count: 0
    .wavefront_size: 32
  - .args:
      - .offset:         0
        .size:           8
        .value_kind:     by_value
      - .address_space:  global
        .offset:         8
        .size:           8
        .value_kind:     global_buffer
      - .offset:         16
        .size:           8
        .value_kind:     by_value
      - .address_space:  global
        .offset:         24
        .size:           8
        .value_kind:     global_buffer
      - .address_space:  global
        .offset:         32
        .size:           8
        .value_kind:     global_buffer
      - .offset:         40
        .size:           4
        .value_kind:     by_value
      - .offset:         48
        .size:           8
        .value_kind:     by_value
      - .address_space:  global
        .offset:         56
        .size:           8
        .value_kind:     global_buffer
      - .address_space:  global
        .offset:         64
        .size:           8
        .value_kind:     global_buffer
      - .offset:         72
        .size:           8
        .value_kind:     by_value
      - .offset:         80
        .size:           4
        .value_kind:     by_value
    .group_segment_fixed_size: 0
    .kernarg_segment_align: 8
    .kernarg_segment_size: 84
    .language:       OpenCL C
    .language_version:
      - 2
      - 0
    .max_flat_workgroup_size: 512
    .name:           _ZN9rocsparseL30csr2ell_strided_batched_kernelILj512EillEEvT2_PKT0_lPKT1_PKS1_21rocsparse_index_base_S1_PS1_PS2_lSA_
    .private_segment_fixed_size: 0
    .sgpr_count:     29
    .sgpr_spill_count: 0
    .symbol:         _ZN9rocsparseL30csr2ell_strided_batched_kernelILj512EillEEvT2_PKT0_lPKT1_PKS1_21rocsparse_index_base_S1_PS1_PS2_lSA_.kd
    .uniform_work_group_size: 1
    .uses_dynamic_stack: false
    .vgpr_count:     17
    .vgpr_spill_count: 0
    .wavefront_size: 32
  - .args:
      - .offset:         0
        .size:           4
        .value_kind:     by_value
      - .address_space:  global
        .offset:         8
        .size:           8
        .value_kind:     global_buffer
      - .offset:         16
        .size:           8
        .value_kind:     by_value
      - .address_space:  global
        .offset:         24
        .size:           8
        .value_kind:     global_buffer
      - .address_space:  global
        .offset:         32
        .size:           8
        .value_kind:     global_buffer
      - .offset:         40
        .size:           4
        .value_kind:     by_value
      - .offset:         44
        .size:           4
        .value_kind:     by_value
      - .address_space:  global
        .offset:         48
        .size:           8
        .value_kind:     global_buffer
      - .address_space:  global
        .offset:         56
        .size:           8
        .value_kind:     global_buffer
      - .offset:         64
        .size:           8
        .value_kind:     by_value
      - .offset:         72
        .size:           4
        .value_kind:     by_value
    .group_segment_fixed_size: 0
    .kernarg_segment_align: 8
    .kernarg_segment_size: 76
    .language:       OpenCL C
    .language_version:
      - 2
      - 0
    .max_flat_workgroup_size: 512
    .name:           _ZN9rocsparseL30csr2ell_strided_batched_kernelILj512EfiiEEvT2_PKT0_lPKT1_PKS1_21rocsparse_index_base_S1_PS1_PS2_lSA_
    .private_segment_fixed_size: 0
    .sgpr_count:     26
    .sgpr_spill_count: 0
    .symbol:         _ZN9rocsparseL30csr2ell_strided_batched_kernelILj512EfiiEEvT2_PKT0_lPKT1_PKS1_21rocsparse_index_base_S1_PS1_PS2_lSA_.kd
    .uniform_work_group_size: 1
    .uses_dynamic_stack: false
    .vgpr_count:     22
    .vgpr_spill_count: 0
    .wavefront_size: 32
  - .args:
      - .offset:         0
        .size:           4
        .value_kind:     by_value
      - .address_space:  global
        .offset:         8
        .size:           8
        .value_kind:     global_buffer
      - .offset:         16
        .size:           8
        .value_kind:     by_value
      - .address_space:  global
        .offset:         24
        .size:           8
        .value_kind:     global_buffer
      - .address_space:  global
        .offset:         32
        .size:           8
        .value_kind:     global_buffer
      - .offset:         40
        .size:           4
        .value_kind:     by_value
      - .offset:         44
        .size:           4
        .value_kind:     by_value
      - .address_space:  global
        .offset:         48
        .size:           8
        .value_kind:     global_buffer
      - .address_space:  global
        .offset:         56
        .size:           8
        .value_kind:     global_buffer
      - .offset:         64
        .size:           8
        .value_kind:     by_value
      - .offset:         72
        .size:           4
        .value_kind:     by_value
    .group_segment_fixed_size: 0
    .kernarg_segment_align: 8
    .kernarg_segment_size: 76
    .language:       OpenCL C
    .language_version:
      - 2
      - 0
    .max_flat_workgroup_size: 512
    .name:           _ZN9rocsparseL30csr2ell_strided_batched_kernelILj512EfliEEvT2_PKT0_lPKT1_PKS1_21rocsparse_index_base_S1_PS1_PS2_lSA_
    .private_segment_fixed_size: 0
    .sgpr_count:     26
    .sgpr_spill_count: 0
    .symbol:         _ZN9rocsparseL30csr2ell_strided_batched_kernelILj512EfliEEvT2_PKT0_lPKT1_PKS1_21rocsparse_index_base_S1_PS1_PS2_lSA_.kd
    .uniform_work_group_size: 1
    .uses_dynamic_stack: false
    .vgpr_count:     22
    .vgpr_spill_count: 0
    .wavefront_size: 32
  - .args:
      - .offset:         0
        .size:           8
        .value_kind:     by_value
      - .address_space:  global
        .offset:         8
        .size:           8
        .value_kind:     global_buffer
      - .offset:         16
        .size:           8
        .value_kind:     by_value
      - .address_space:  global
        .offset:         24
        .size:           8
        .value_kind:     global_buffer
      - .address_space:  global
        .offset:         32
        .size:           8
        .value_kind:     global_buffer
      - .offset:         40
        .size:           4
        .value_kind:     by_value
      - .offset:         48
        .size:           8
        .value_kind:     by_value
      - .address_space:  global
        .offset:         56
        .size:           8
        .value_kind:     global_buffer
      - .address_space:  global
        .offset:         64
        .size:           8
        .value_kind:     global_buffer
      - .offset:         72
        .size:           8
        .value_kind:     by_value
      - .offset:         80
        .size:           4
        .value_kind:     by_value
    .group_segment_fixed_size: 0
    .kernarg_segment_align: 8
    .kernarg_segment_size: 84
    .language:       OpenCL C
    .language_version:
      - 2
      - 0
    .max_flat_workgroup_size: 512
    .name:           _ZN9rocsparseL30csr2ell_strided_batched_kernelILj512EfilEEvT2_PKT0_lPKT1_PKS1_21rocsparse_index_base_S1_PS1_PS2_lSA_
    .private_segment_fixed_size: 0
    .sgpr_count:     28
    .sgpr_spill_count: 0
    .symbol:         _ZN9rocsparseL30csr2ell_strided_batched_kernelILj512EfilEEvT2_PKT0_lPKT1_PKS1_21rocsparse_index_base_S1_PS1_PS2_lSA_.kd
    .uniform_work_group_size: 1
    .uses_dynamic_stack: false
    .vgpr_count:     12
    .vgpr_spill_count: 0
    .wavefront_size: 32
  - .args:
      - .offset:         0
        .size:           8
        .value_kind:     by_value
      - .address_space:  global
        .offset:         8
        .size:           8
        .value_kind:     global_buffer
      - .offset:         16
        .size:           8
        .value_kind:     by_value
      - .address_space:  global
        .offset:         24
        .size:           8
        .value_kind:     global_buffer
      - .address_space:  global
        .offset:         32
        .size:           8
        .value_kind:     global_buffer
      - .offset:         40
        .size:           4
        .value_kind:     by_value
      - .offset:         48
        .size:           8
        .value_kind:     by_value
      - .address_space:  global
        .offset:         56
        .size:           8
        .value_kind:     global_buffer
      - .address_space:  global
        .offset:         64
        .size:           8
        .value_kind:     global_buffer
      - .offset:         72
        .size:           8
        .value_kind:     by_value
      - .offset:         80
        .size:           4
        .value_kind:     by_value
    .group_segment_fixed_size: 0
    .kernarg_segment_align: 8
    .kernarg_segment_size: 84
    .language:       OpenCL C
    .language_version:
      - 2
      - 0
    .max_flat_workgroup_size: 512
    .name:           _ZN9rocsparseL30csr2ell_strided_batched_kernelILj512EfllEEvT2_PKT0_lPKT1_PKS1_21rocsparse_index_base_S1_PS1_PS2_lSA_
    .private_segment_fixed_size: 0
    .sgpr_count:     29
    .sgpr_spill_count: 0
    .symbol:         _ZN9rocsparseL30csr2ell_strided_batched_kernelILj512EfllEEvT2_PKT0_lPKT1_PKS1_21rocsparse_index_base_S1_PS1_PS2_lSA_.kd
    .uniform_work_group_size: 1
    .uses_dynamic_stack: false
    .vgpr_count:     17
    .vgpr_spill_count: 0
    .wavefront_size: 32
  - .args:
      - .offset:         0
        .size:           4
        .value_kind:     by_value
      - .address_space:  global
        .offset:         8
        .size:           8
        .value_kind:     global_buffer
      - .offset:         16
        .size:           8
        .value_kind:     by_value
      - .address_space:  global
        .offset:         24
        .size:           8
        .value_kind:     global_buffer
      - .address_space:  global
        .offset:         32
        .size:           8
        .value_kind:     global_buffer
      - .offset:         40
        .size:           4
        .value_kind:     by_value
      - .offset:         44
        .size:           4
        .value_kind:     by_value
      - .address_space:  global
        .offset:         48
        .size:           8
        .value_kind:     global_buffer
      - .address_space:  global
        .offset:         56
        .size:           8
        .value_kind:     global_buffer
      - .offset:         64
        .size:           8
        .value_kind:     by_value
      - .offset:         72
        .size:           4
        .value_kind:     by_value
    .group_segment_fixed_size: 0
    .kernarg_segment_align: 8
    .kernarg_segment_size: 76
    .language:       OpenCL C
    .language_version:
      - 2
      - 0
    .max_flat_workgroup_size: 512
    .name:           _ZN9rocsparseL30csr2ell_strided_batched_kernelILj512EdiiEEvT2_PKT0_lPKT1_PKS1_21rocsparse_index_base_S1_PS1_PS2_lSA_
    .private_segment_fixed_size: 0
    .sgpr_count:     24
    .sgpr_spill_count: 0
    .symbol:         _ZN9rocsparseL30csr2ell_strided_batched_kernelILj512EdiiEEvT2_PKT0_lPKT1_PKS1_21rocsparse_index_base_S1_PS1_PS2_lSA_.kd
    .uniform_work_group_size: 1
    .uses_dynamic_stack: false
    .vgpr_count:     12
    .vgpr_spill_count: 0
    .wavefront_size: 32
  - .args:
      - .offset:         0
        .size:           4
        .value_kind:     by_value
      - .address_space:  global
        .offset:         8
        .size:           8
        .value_kind:     global_buffer
      - .offset:         16
        .size:           8
        .value_kind:     by_value
      - .address_space:  global
        .offset:         24
        .size:           8
        .value_kind:     global_buffer
      - .address_space:  global
        .offset:         32
        .size:           8
        .value_kind:     global_buffer
      - .offset:         40
        .size:           4
        .value_kind:     by_value
      - .offset:         44
        .size:           4
        .value_kind:     by_value
      - .address_space:  global
        .offset:         48
        .size:           8
        .value_kind:     global_buffer
      - .address_space:  global
        .offset:         56
        .size:           8
        .value_kind:     global_buffer
      - .offset:         64
        .size:           8
        .value_kind:     by_value
      - .offset:         72
        .size:           4
        .value_kind:     by_value
    .group_segment_fixed_size: 0
    .kernarg_segment_align: 8
    .kernarg_segment_size: 76
    .language:       OpenCL C
    .language_version:
      - 2
      - 0
    .max_flat_workgroup_size: 512
    .name:           _ZN9rocsparseL30csr2ell_strided_batched_kernelILj512EdliEEvT2_PKT0_lPKT1_PKS1_21rocsparse_index_base_S1_PS1_PS2_lSA_
    .private_segment_fixed_size: 0
    .sgpr_count:     26
    .sgpr_spill_count: 0
    .symbol:         _ZN9rocsparseL30csr2ell_strided_batched_kernelILj512EdliEEvT2_PKT0_lPKT1_PKS1_21rocsparse_index_base_S1_PS1_PS2_lSA_.kd
    .uniform_work_group_size: 1
    .uses_dynamic_stack: false
    .vgpr_count:     16
    .vgpr_spill_count: 0
    .wavefront_size: 32
  - .args:
      - .offset:         0
        .size:           8
        .value_kind:     by_value
      - .address_space:  global
        .offset:         8
        .size:           8
        .value_kind:     global_buffer
      - .offset:         16
        .size:           8
        .value_kind:     by_value
      - .address_space:  global
        .offset:         24
        .size:           8
        .value_kind:     global_buffer
      - .address_space:  global
        .offset:         32
        .size:           8
        .value_kind:     global_buffer
      - .offset:         40
        .size:           4
        .value_kind:     by_value
      - .offset:         48
        .size:           8
        .value_kind:     by_value
      - .address_space:  global
        .offset:         56
        .size:           8
        .value_kind:     global_buffer
      - .address_space:  global
        .offset:         64
        .size:           8
        .value_kind:     global_buffer
      - .offset:         72
        .size:           8
        .value_kind:     by_value
      - .offset:         80
        .size:           4
        .value_kind:     by_value
    .group_segment_fixed_size: 0
    .kernarg_segment_align: 8
    .kernarg_segment_size: 84
    .language:       OpenCL C
    .language_version:
      - 2
      - 0
    .max_flat_workgroup_size: 512
    .name:           _ZN9rocsparseL30csr2ell_strided_batched_kernelILj512EdilEEvT2_PKT0_lPKT1_PKS1_21rocsparse_index_base_S1_PS1_PS2_lSA_
    .private_segment_fixed_size: 0
    .sgpr_count:     28
    .sgpr_spill_count: 0
    .symbol:         _ZN9rocsparseL30csr2ell_strided_batched_kernelILj512EdilEEvT2_PKT0_lPKT1_PKS1_21rocsparse_index_base_S1_PS1_PS2_lSA_.kd
    .uniform_work_group_size: 1
    .uses_dynamic_stack: false
    .vgpr_count:     14
    .vgpr_spill_count: 0
    .wavefront_size: 32
  - .args:
      - .offset:         0
        .size:           8
        .value_kind:     by_value
      - .address_space:  global
        .offset:         8
        .size:           8
        .value_kind:     global_buffer
      - .offset:         16
        .size:           8
        .value_kind:     by_value
      - .address_space:  global
        .offset:         24
        .size:           8
        .value_kind:     global_buffer
      - .address_space:  global
        .offset:         32
        .size:           8
        .value_kind:     global_buffer
      - .offset:         40
        .size:           4
        .value_kind:     by_value
      - .offset:         48
        .size:           8
        .value_kind:     by_value
      - .address_space:  global
        .offset:         56
        .size:           8
        .value_kind:     global_buffer
      - .address_space:  global
        .offset:         64
        .size:           8
        .value_kind:     global_buffer
      - .offset:         72
        .size:           8
        .value_kind:     by_value
      - .offset:         80
        .size:           4
        .value_kind:     by_value
    .group_segment_fixed_size: 0
    .kernarg_segment_align: 8
    .kernarg_segment_size: 84
    .language:       OpenCL C
    .language_version:
      - 2
      - 0
    .max_flat_workgroup_size: 512
    .name:           _ZN9rocsparseL30csr2ell_strided_batched_kernelILj512EdllEEvT2_PKT0_lPKT1_PKS1_21rocsparse_index_base_S1_PS1_PS2_lSA_
    .private_segment_fixed_size: 0
    .sgpr_count:     28
    .sgpr_spill_count: 0
    .symbol:         _ZN9rocsparseL30csr2ell_strided_batched_kernelILj512EdllEEvT2_PKT0_lPKT1_PKS1_21rocsparse_index_base_S1_PS1_PS2_lSA_.kd
    .uniform_work_group_size: 1
    .uses_dynamic_stack: false
    .vgpr_count:     18
    .vgpr_spill_count: 0
    .wavefront_size: 32
  - .args:
      - .offset:         0
        .size:           4
        .value_kind:     by_value
      - .address_space:  global
        .offset:         8
        .size:           8
        .value_kind:     global_buffer
      - .offset:         16
        .size:           8
        .value_kind:     by_value
      - .address_space:  global
        .offset:         24
        .size:           8
        .value_kind:     global_buffer
      - .address_space:  global
        .offset:         32
        .size:           8
        .value_kind:     global_buffer
      - .offset:         40
        .size:           4
        .value_kind:     by_value
      - .offset:         44
        .size:           4
        .value_kind:     by_value
      - .address_space:  global
        .offset:         48
        .size:           8
        .value_kind:     global_buffer
      - .address_space:  global
        .offset:         56
        .size:           8
        .value_kind:     global_buffer
      - .offset:         64
        .size:           8
        .value_kind:     by_value
      - .offset:         72
        .size:           4
        .value_kind:     by_value
    .group_segment_fixed_size: 0
    .kernarg_segment_align: 8
    .kernarg_segment_size: 76
    .language:       OpenCL C
    .language_version:
      - 2
      - 0
    .max_flat_workgroup_size: 512
    .name:           _ZN9rocsparseL30csr2ell_strided_batched_kernelILj512E21rocsparse_complex_numIfEiiEEvT2_PKT0_lPKT1_PKS3_21rocsparse_index_base_S3_PS3_PS4_lSC_
    .private_segment_fixed_size: 0
    .sgpr_count:     24
    .sgpr_spill_count: 0
    .symbol:         _ZN9rocsparseL30csr2ell_strided_batched_kernelILj512E21rocsparse_complex_numIfEiiEEvT2_PKT0_lPKT1_PKS3_21rocsparse_index_base_S3_PS3_PS4_lSC_.kd
    .uniform_work_group_size: 1
    .uses_dynamic_stack: false
    .vgpr_count:     12
    .vgpr_spill_count: 0
    .wavefront_size: 32
  - .args:
      - .offset:         0
        .size:           4
        .value_kind:     by_value
      - .address_space:  global
        .offset:         8
        .size:           8
        .value_kind:     global_buffer
      - .offset:         16
        .size:           8
        .value_kind:     by_value
      - .address_space:  global
        .offset:         24
        .size:           8
        .value_kind:     global_buffer
      - .address_space:  global
        .offset:         32
        .size:           8
        .value_kind:     global_buffer
      - .offset:         40
        .size:           4
        .value_kind:     by_value
      - .offset:         44
        .size:           4
        .value_kind:     by_value
      - .address_space:  global
        .offset:         48
        .size:           8
        .value_kind:     global_buffer
      - .address_space:  global
        .offset:         56
        .size:           8
        .value_kind:     global_buffer
      - .offset:         64
        .size:           8
        .value_kind:     by_value
      - .offset:         72
        .size:           4
        .value_kind:     by_value
    .group_segment_fixed_size: 0
    .kernarg_segment_align: 8
    .kernarg_segment_size: 76
    .language:       OpenCL C
    .language_version:
      - 2
      - 0
    .max_flat_workgroup_size: 512
    .name:           _ZN9rocsparseL30csr2ell_strided_batched_kernelILj512E21rocsparse_complex_numIfEliEEvT2_PKT0_lPKT1_PKS3_21rocsparse_index_base_S3_PS3_PS4_lSC_
    .private_segment_fixed_size: 0
    .sgpr_count:     26
    .sgpr_spill_count: 0
    .symbol:         _ZN9rocsparseL30csr2ell_strided_batched_kernelILj512E21rocsparse_complex_numIfEliEEvT2_PKT0_lPKT1_PKS3_21rocsparse_index_base_S3_PS3_PS4_lSC_.kd
    .uniform_work_group_size: 1
    .uses_dynamic_stack: false
    .vgpr_count:     16
    .vgpr_spill_count: 0
    .wavefront_size: 32
  - .args:
      - .offset:         0
        .size:           8
        .value_kind:     by_value
      - .address_space:  global
        .offset:         8
        .size:           8
        .value_kind:     global_buffer
      - .offset:         16
        .size:           8
        .value_kind:     by_value
      - .address_space:  global
        .offset:         24
        .size:           8
        .value_kind:     global_buffer
      - .address_space:  global
        .offset:         32
        .size:           8
        .value_kind:     global_buffer
      - .offset:         40
        .size:           4
        .value_kind:     by_value
      - .offset:         48
        .size:           8
        .value_kind:     by_value
      - .address_space:  global
        .offset:         56
        .size:           8
        .value_kind:     global_buffer
      - .address_space:  global
        .offset:         64
        .size:           8
        .value_kind:     global_buffer
      - .offset:         72
        .size:           8
        .value_kind:     by_value
      - .offset:         80
        .size:           4
        .value_kind:     by_value
    .group_segment_fixed_size: 0
    .kernarg_segment_align: 8
    .kernarg_segment_size: 84
    .language:       OpenCL C
    .language_version:
      - 2
      - 0
    .max_flat_workgroup_size: 512
    .name:           _ZN9rocsparseL30csr2ell_strided_batched_kernelILj512E21rocsparse_complex_numIfEilEEvT2_PKT0_lPKT1_PKS3_21rocsparse_index_base_S3_PS3_PS4_lSC_
    .private_segment_fixed_size: 0
    .sgpr_count:     28
    .sgpr_spill_count: 0
    .symbol:         _ZN9rocsparseL30csr2ell_strided_batched_kernelILj512E21rocsparse_complex_numIfEilEEvT2_PKT0_lPKT1_PKS3_21rocsparse_index_base_S3_PS3_PS4_lSC_.kd
    .uniform_work_group_size: 1
    .uses_dynamic_stack: false
    .vgpr_count:     12
    .vgpr_spill_count: 0
    .wavefront_size: 32
  - .args:
      - .offset:         0
        .size:           8
        .value_kind:     by_value
      - .address_space:  global
        .offset:         8
        .size:           8
        .value_kind:     global_buffer
      - .offset:         16
        .size:           8
        .value_kind:     by_value
      - .address_space:  global
        .offset:         24
        .size:           8
        .value_kind:     global_buffer
      - .address_space:  global
        .offset:         32
        .size:           8
        .value_kind:     global_buffer
      - .offset:         40
        .size:           4
        .value_kind:     by_value
      - .offset:         48
        .size:           8
        .value_kind:     by_value
      - .address_space:  global
        .offset:         56
        .size:           8
        .value_kind:     global_buffer
      - .address_space:  global
        .offset:         64
        .size:           8
        .value_kind:     global_buffer
      - .offset:         72
        .size:           8
        .value_kind:     by_value
      - .offset:         80
        .size:           4
        .value_kind:     by_value
    .group_segment_fixed_size: 0
    .kernarg_segment_align: 8
    .kernarg_segment_size: 84
    .language:       OpenCL C
    .language_version:
      - 2
      - 0
    .max_flat_workgroup_size: 512
    .name:           _ZN9rocsparseL30csr2ell_strided_batched_kernelILj512E21rocsparse_complex_numIfEllEEvT2_PKT0_lPKT1_PKS3_21rocsparse_index_base_S3_PS3_PS4_lSC_
    .private_segment_fixed_size: 0
    .sgpr_count:     28
    .sgpr_spill_count: 0
    .symbol:         _ZN9rocsparseL30csr2ell_strided_batched_kernelILj512E21rocsparse_complex_numIfEllEEvT2_PKT0_lPKT1_PKS3_21rocsparse_index_base_S3_PS3_PS4_lSC_.kd
    .uniform_work_group_size: 1
    .uses_dynamic_stack: false
    .vgpr_count:     14
    .vgpr_spill_count: 0
    .wavefront_size: 32
  - .args:
      - .offset:         0
        .size:           4
        .value_kind:     by_value
      - .address_space:  global
        .offset:         8
        .size:           8
        .value_kind:     global_buffer
      - .offset:         16
        .size:           8
        .value_kind:     by_value
      - .address_space:  global
        .offset:         24
        .size:           8
        .value_kind:     global_buffer
      - .address_space:  global
        .offset:         32
        .size:           8
        .value_kind:     global_buffer
      - .offset:         40
        .size:           4
        .value_kind:     by_value
      - .offset:         44
        .size:           4
        .value_kind:     by_value
      - .address_space:  global
        .offset:         48
        .size:           8
        .value_kind:     global_buffer
      - .address_space:  global
        .offset:         56
        .size:           8
        .value_kind:     global_buffer
      - .offset:         64
        .size:           8
        .value_kind:     by_value
      - .offset:         72
        .size:           4
        .value_kind:     by_value
    .group_segment_fixed_size: 0
    .kernarg_segment_align: 8
    .kernarg_segment_size: 76
    .language:       OpenCL C
    .language_version:
      - 2
      - 0
    .max_flat_workgroup_size: 512
    .name:           _ZN9rocsparseL30csr2ell_strided_batched_kernelILj512E21rocsparse_complex_numIdEiiEEvT2_PKT0_lPKT1_PKS3_21rocsparse_index_base_S3_PS3_PS4_lSC_
    .private_segment_fixed_size: 0
    .sgpr_count:     24
    .sgpr_spill_count: 0
    .symbol:         _ZN9rocsparseL30csr2ell_strided_batched_kernelILj512E21rocsparse_complex_numIdEiiEEvT2_PKT0_lPKT1_PKS3_21rocsparse_index_base_S3_PS3_PS4_lSC_.kd
    .uniform_work_group_size: 1
    .uses_dynamic_stack: false
    .vgpr_count:     14
    .vgpr_spill_count: 0
    .wavefront_size: 32
  - .args:
      - .offset:         0
        .size:           4
        .value_kind:     by_value
      - .address_space:  global
        .offset:         8
        .size:           8
        .value_kind:     global_buffer
      - .offset:         16
        .size:           8
        .value_kind:     by_value
      - .address_space:  global
        .offset:         24
        .size:           8
        .value_kind:     global_buffer
      - .address_space:  global
        .offset:         32
        .size:           8
        .value_kind:     global_buffer
      - .offset:         40
        .size:           4
        .value_kind:     by_value
      - .offset:         44
        .size:           4
        .value_kind:     by_value
      - .address_space:  global
        .offset:         48
        .size:           8
        .value_kind:     global_buffer
      - .address_space:  global
        .offset:         56
        .size:           8
        .value_kind:     global_buffer
      - .offset:         64
        .size:           8
        .value_kind:     by_value
      - .offset:         72
        .size:           4
        .value_kind:     by_value
    .group_segment_fixed_size: 0
    .kernarg_segment_align: 8
    .kernarg_segment_size: 76
    .language:       OpenCL C
    .language_version:
      - 2
      - 0
    .max_flat_workgroup_size: 512
    .name:           _ZN9rocsparseL30csr2ell_strided_batched_kernelILj512E21rocsparse_complex_numIdEliEEvT2_PKT0_lPKT1_PKS3_21rocsparse_index_base_S3_PS3_PS4_lSC_
    .private_segment_fixed_size: 0
    .sgpr_count:     26
    .sgpr_spill_count: 0
    .symbol:         _ZN9rocsparseL30csr2ell_strided_batched_kernelILj512E21rocsparse_complex_numIdEliEEvT2_PKT0_lPKT1_PKS3_21rocsparse_index_base_S3_PS3_PS4_lSC_.kd
    .uniform_work_group_size: 1
    .uses_dynamic_stack: false
    .vgpr_count:     18
    .vgpr_spill_count: 0
    .wavefront_size: 32
  - .args:
      - .offset:         0
        .size:           8
        .value_kind:     by_value
      - .address_space:  global
        .offset:         8
        .size:           8
        .value_kind:     global_buffer
      - .offset:         16
        .size:           8
        .value_kind:     by_value
      - .address_space:  global
        .offset:         24
        .size:           8
        .value_kind:     global_buffer
      - .address_space:  global
        .offset:         32
        .size:           8
        .value_kind:     global_buffer
      - .offset:         40
        .size:           4
        .value_kind:     by_value
      - .offset:         48
        .size:           8
        .value_kind:     by_value
      - .address_space:  global
        .offset:         56
        .size:           8
        .value_kind:     global_buffer
      - .address_space:  global
        .offset:         64
        .size:           8
        .value_kind:     global_buffer
      - .offset:         72
        .size:           8
        .value_kind:     by_value
      - .offset:         80
        .size:           4
        .value_kind:     by_value
    .group_segment_fixed_size: 0
    .kernarg_segment_align: 8
    .kernarg_segment_size: 84
    .language:       OpenCL C
    .language_version:
      - 2
      - 0
    .max_flat_workgroup_size: 512
    .name:           _ZN9rocsparseL30csr2ell_strided_batched_kernelILj512E21rocsparse_complex_numIdEilEEvT2_PKT0_lPKT1_PKS3_21rocsparse_index_base_S3_PS3_PS4_lSC_
    .private_segment_fixed_size: 0
    .sgpr_count:     28
    .sgpr_spill_count: 0
    .symbol:         _ZN9rocsparseL30csr2ell_strided_batched_kernelILj512E21rocsparse_complex_numIdEilEEvT2_PKT0_lPKT1_PKS3_21rocsparse_index_base_S3_PS3_PS4_lSC_.kd
    .uniform_work_group_size: 1
    .uses_dynamic_stack: false
    .vgpr_count:     14
    .vgpr_spill_count: 0
    .wavefront_size: 32
  - .args:
      - .offset:         0
        .size:           8
        .value_kind:     by_value
      - .address_space:  global
        .offset:         8
        .size:           8
        .value_kind:     global_buffer
      - .offset:         16
        .size:           8
        .value_kind:     by_value
      - .address_space:  global
        .offset:         24
        .size:           8
        .value_kind:     global_buffer
      - .address_space:  global
        .offset:         32
        .size:           8
        .value_kind:     global_buffer
      - .offset:         40
        .size:           4
        .value_kind:     by_value
      - .offset:         48
        .size:           8
        .value_kind:     by_value
      - .address_space:  global
        .offset:         56
        .size:           8
        .value_kind:     global_buffer
      - .address_space:  global
        .offset:         64
        .size:           8
        .value_kind:     global_buffer
      - .offset:         72
        .size:           8
        .value_kind:     by_value
      - .offset:         80
        .size:           4
        .value_kind:     by_value
    .group_segment_fixed_size: 0
    .kernarg_segment_align: 8
    .kernarg_segment_size: 84
    .language:       OpenCL C
    .language_version:
      - 2
      - 0
    .max_flat_workgroup_size: 512
    .name:           _ZN9rocsparseL30csr2ell_strided_batched_kernelILj512E21rocsparse_complex_numIdEllEEvT2_PKT0_lPKT1_PKS3_21rocsparse_index_base_S3_PS3_PS4_lSC_
    .private_segment_fixed_size: 0
    .sgpr_count:     29
    .sgpr_spill_count: 0
    .symbol:         _ZN9rocsparseL30csr2ell_strided_batched_kernelILj512E21rocsparse_complex_numIdEllEEvT2_PKT0_lPKT1_PKS3_21rocsparse_index_base_S3_PS3_PS4_lSC_.kd
    .uniform_work_group_size: 1
    .uses_dynamic_stack: false
    .vgpr_count:     16
    .vgpr_spill_count: 0
    .wavefront_size: 32
amdhsa.target:   amdgcn-amd-amdhsa--gfx1250
amdhsa.version:
  - 1
  - 2
...

	.end_amdgpu_metadata
